;; amdgpu-corpus repo=ROCm/rocFFT kind=compiled arch=gfx950 opt=O3
	.text
	.amdgcn_target "amdgcn-amd-amdhsa--gfx950"
	.amdhsa_code_object_version 6
	.protected	bluestein_single_back_len286_dim1_half_op_CI_CI ; -- Begin function bluestein_single_back_len286_dim1_half_op_CI_CI
	.globl	bluestein_single_back_len286_dim1_half_op_CI_CI
	.p2align	8
	.type	bluestein_single_back_len286_dim1_half_op_CI_CI,@function
bluestein_single_back_len286_dim1_half_op_CI_CI: ; @bluestein_single_back_len286_dim1_half_op_CI_CI
; %bb.0:
	s_load_dwordx4 s[8:11], s[0:1], 0x28
	v_mul_u32_u24_e32 v1, 0x9d9, v0
	v_lshrrev_b32_e32 v1, 16, v1
	v_mov_b32_e32 v9, 0
	v_lshl_add_u32 v10, s2, 1, v1
	v_mov_b32_e32 v11, v9
	s_waitcnt lgkmcnt(0)
	v_cmp_gt_u64_e32 vcc, s[8:9], v[10:11]
	s_and_saveexec_b64 s[2:3], vcc
	s_cbranch_execz .LBB0_23
; %bb.1:
	s_load_dwordx2 s[12:13], s[0:1], 0x0
	s_load_dwordx2 s[14:15], s[0:1], 0x38
	v_mul_lo_u16_e32 v2, 26, v1
	v_sub_u16_e32 v8, v0, v2
	v_and_b32_e32 v0, 1, v1
	v_mov_b32_e32 v1, 0x11e
	v_cmp_eq_u32_e32 vcc, 1, v0
	v_lshlrev_b32_e32 v11, 2, v8
	s_nop 0
	v_cndmask_b32_e32 v30, 0, v1, vcc
	v_cmp_gt_u16_e32 vcc, 22, v8
	v_lshlrev_b32_e32 v31, 2, v30
	s_and_saveexec_b64 s[2:3], vcc
	s_cbranch_execz .LBB0_3
; %bb.2:
	s_load_dwordx2 s[4:5], s[0:1], 0x18
	v_mov_b32_e32 v0, s10
	v_mov_b32_e32 v1, s11
	v_lshl_add_u32 v29, v8, 2, v31
	v_add_u32_e32 v34, v31, v11
	s_waitcnt lgkmcnt(0)
	s_load_dwordx4 s[4:7], s[4:5], 0x0
	s_waitcnt lgkmcnt(0)
	v_mad_u64_u32 v[2:3], s[8:9], s6, v10, 0
	v_mad_u64_u32 v[4:5], s[8:9], s4, v8, 0
	v_mov_b32_e32 v6, v3
	v_mov_b32_e32 v12, v5
	v_mad_u64_u32 v[6:7], s[6:7], s7, v10, v[6:7]
	v_mov_b32_e32 v3, v6
	v_mad_u64_u32 v[6:7], s[6:7], s5, v8, v[12:13]
	v_mov_b32_e32 v5, v6
	v_lshl_add_u64 v[0:1], v[2:3], 2, v[0:1]
	v_lshl_add_u64 v[0:1], v[4:5], 2, v[0:1]
	global_load_dword v2, v[0:1], off
	v_mov_b32_e32 v3, 0x58
	global_load_dword v4, v11, s[12:13]
	v_mad_u64_u32 v[0:1], s[6:7], s4, v3, v[0:1]
	s_mul_i32 s8, s5, 0x58
	v_add_u32_e32 v1, s8, v1
	global_load_dword v5, v[0:1], off
	global_load_dword v6, v11, s[12:13] offset:88
	v_mad_u64_u32 v[0:1], s[6:7], s4, v3, v[0:1]
	v_add_u32_e32 v1, s8, v1
	global_load_dword v7, v[0:1], off
	global_load_dword v12, v11, s[12:13] offset:176
	v_mad_u64_u32 v[0:1], s[6:7], s4, v3, v[0:1]
	;; [unrolled: 4-line block ×11, first 2 shown]
	v_add_u32_e32 v1, s8, v1
	global_load_dword v3, v[0:1], off
	global_load_dword v35, v11, s[12:13] offset:1056
	s_waitcnt vmcnt(25)
	v_lshrrev_b32_e32 v0, 16, v2
	s_waitcnt vmcnt(24)
	v_mul_f16_sdwa v1, v4, v2 dst_sel:DWORD dst_unused:UNUSED_PAD src0_sel:WORD_1 src1_sel:DWORD
	v_mul_f16_sdwa v36, v4, v0 dst_sel:DWORD dst_unused:UNUSED_PAD src0_sel:WORD_1 src1_sel:DWORD
	v_fma_f16 v0, v4, v0, -v1
	v_fma_f16 v1, v4, v2, v36
	s_waitcnt vmcnt(23)
	v_lshrrev_b32_e32 v2, 16, v5
	s_waitcnt vmcnt(22)
	v_mul_f16_sdwa v4, v6, v5 dst_sel:DWORD dst_unused:UNUSED_PAD src0_sel:WORD_1 src1_sel:DWORD
	v_pack_b32_f16 v0, v1, v0
	v_mul_f16_sdwa v1, v6, v2 dst_sel:DWORD dst_unused:UNUSED_PAD src0_sel:WORD_1 src1_sel:DWORD
	v_fma_f16 v2, v6, v2, -v4
	ds_write_b32 v29, v0
	v_fma_f16 v0, v6, v5, v1
	s_waitcnt vmcnt(21)
	v_lshrrev_b32_e32 v1, 16, v7
	s_waitcnt vmcnt(20)
	v_mul_f16_sdwa v4, v12, v7 dst_sel:DWORD dst_unused:UNUSED_PAD src0_sel:WORD_1 src1_sel:DWORD
	v_pack_b32_f16 v0, v0, v2
	v_mul_f16_sdwa v2, v12, v1 dst_sel:DWORD dst_unused:UNUSED_PAD src0_sel:WORD_1 src1_sel:DWORD
	v_fma_f16 v1, v12, v1, -v4
	v_fma_f16 v2, v12, v7, v2
	s_waitcnt vmcnt(19)
	v_lshrrev_b32_e32 v4, 16, v13
	v_pack_b32_f16 v1, v2, v1
	ds_write2_b32 v34, v0, v1 offset0:22 offset1:44
	s_waitcnt vmcnt(18)
	v_mul_f16_sdwa v0, v14, v4 dst_sel:DWORD dst_unused:UNUSED_PAD src0_sel:WORD_1 src1_sel:DWORD
	v_mul_f16_sdwa v1, v14, v13 dst_sel:DWORD dst_unused:UNUSED_PAD src0_sel:WORD_1 src1_sel:DWORD
	v_fma_f16 v0, v14, v13, v0
	v_fma_f16 v1, v14, v4, -v1
	v_pack_b32_f16 v0, v0, v1
	s_waitcnt vmcnt(17)
	v_lshrrev_b32_e32 v1, 16, v15
	s_waitcnt vmcnt(16)
	v_mul_f16_sdwa v2, v16, v1 dst_sel:DWORD dst_unused:UNUSED_PAD src0_sel:WORD_1 src1_sel:DWORD
	v_mul_f16_sdwa v4, v16, v15 dst_sel:DWORD dst_unused:UNUSED_PAD src0_sel:WORD_1 src1_sel:DWORD
	v_fma_f16 v2, v16, v15, v2
	v_fma_f16 v1, v16, v1, -v4
	v_pack_b32_f16 v1, v2, v1
	ds_write2_b32 v34, v0, v1 offset0:66 offset1:88
	s_waitcnt vmcnt(15)
	v_lshrrev_b32_e32 v0, 16, v17
	s_waitcnt vmcnt(14)
	v_mul_f16_sdwa v1, v18, v0 dst_sel:DWORD dst_unused:UNUSED_PAD src0_sel:WORD_1 src1_sel:DWORD
	v_mul_f16_sdwa v2, v18, v17 dst_sel:DWORD dst_unused:UNUSED_PAD src0_sel:WORD_1 src1_sel:DWORD
	v_fma_f16 v1, v18, v17, v1
	v_fma_f16 v0, v18, v0, -v2
	v_pack_b32_f16 v0, v1, v0
	s_waitcnt vmcnt(13)
	v_lshrrev_b32_e32 v1, 16, v19
	s_waitcnt vmcnt(12)
	v_mul_f16_sdwa v2, v20, v1 dst_sel:DWORD dst_unused:UNUSED_PAD src0_sel:WORD_1 src1_sel:DWORD
	v_mul_f16_sdwa v4, v20, v19 dst_sel:DWORD dst_unused:UNUSED_PAD src0_sel:WORD_1 src1_sel:DWORD
	v_fma_f16 v2, v20, v19, v2
	v_fma_f16 v1, v20, v1, -v4
	v_pack_b32_f16 v1, v2, v1
	ds_write2_b32 v34, v0, v1 offset0:110 offset1:132
	s_waitcnt vmcnt(11)
	v_lshrrev_b32_e32 v0, 16, v21
	s_waitcnt vmcnt(10)
	v_mul_f16_sdwa v1, v22, v0 dst_sel:DWORD dst_unused:UNUSED_PAD src0_sel:WORD_1 src1_sel:DWORD
	v_mul_f16_sdwa v2, v22, v21 dst_sel:DWORD dst_unused:UNUSED_PAD src0_sel:WORD_1 src1_sel:DWORD
	v_fma_f16 v1, v22, v21, v1
	v_fma_f16 v0, v22, v0, -v2
	v_pack_b32_f16 v0, v1, v0
	s_waitcnt vmcnt(9)
	v_lshrrev_b32_e32 v1, 16, v23
	s_waitcnt vmcnt(8)
	v_mul_f16_sdwa v2, v24, v1 dst_sel:DWORD dst_unused:UNUSED_PAD src0_sel:WORD_1 src1_sel:DWORD
	v_mul_f16_sdwa v4, v24, v23 dst_sel:DWORD dst_unused:UNUSED_PAD src0_sel:WORD_1 src1_sel:DWORD
	v_fma_f16 v2, v24, v23, v2
	v_fma_f16 v1, v24, v1, -v4
	v_pack_b32_f16 v1, v2, v1
	ds_write2_b32 v34, v0, v1 offset0:154 offset1:176
	s_waitcnt vmcnt(7)
	v_lshrrev_b32_e32 v0, 16, v25
	s_waitcnt vmcnt(6)
	v_mul_f16_sdwa v1, v26, v0 dst_sel:DWORD dst_unused:UNUSED_PAD src0_sel:WORD_1 src1_sel:DWORD
	v_mul_f16_sdwa v2, v26, v25 dst_sel:DWORD dst_unused:UNUSED_PAD src0_sel:WORD_1 src1_sel:DWORD
	v_fma_f16 v1, v26, v25, v1
	v_fma_f16 v0, v26, v0, -v2
	v_pack_b32_f16 v0, v1, v0
	s_waitcnt vmcnt(5)
	v_lshrrev_b32_e32 v1, 16, v27
	s_waitcnt vmcnt(4)
	v_mul_f16_sdwa v2, v28, v1 dst_sel:DWORD dst_unused:UNUSED_PAD src0_sel:WORD_1 src1_sel:DWORD
	v_mul_f16_sdwa v4, v28, v27 dst_sel:DWORD dst_unused:UNUSED_PAD src0_sel:WORD_1 src1_sel:DWORD
	v_fma_f16 v2, v28, v27, v2
	v_fma_f16 v1, v28, v1, -v4
	v_pack_b32_f16 v1, v2, v1
	ds_write2_b32 v34, v0, v1 offset0:198 offset1:220
	s_waitcnt vmcnt(3)
	v_lshrrev_b32_e32 v0, 16, v32
	s_waitcnt vmcnt(2)
	v_mul_f16_sdwa v1, v33, v0 dst_sel:DWORD dst_unused:UNUSED_PAD src0_sel:WORD_1 src1_sel:DWORD
	v_mul_f16_sdwa v2, v33, v32 dst_sel:DWORD dst_unused:UNUSED_PAD src0_sel:WORD_1 src1_sel:DWORD
	v_fma_f16 v1, v33, v32, v1
	v_fma_f16 v0, v33, v0, -v2
	v_pack_b32_f16 v0, v1, v0
	s_waitcnt vmcnt(1)
	v_lshrrev_b32_e32 v1, 16, v3
	s_waitcnt vmcnt(0)
	v_mul_f16_sdwa v2, v35, v1 dst_sel:DWORD dst_unused:UNUSED_PAD src0_sel:WORD_1 src1_sel:DWORD
	v_fma_f16 v2, v35, v3, v2
	v_mul_f16_sdwa v3, v35, v3 dst_sel:DWORD dst_unused:UNUSED_PAD src0_sel:WORD_1 src1_sel:DWORD
	v_fma_f16 v1, v35, v1, -v3
	v_pack_b32_f16 v1, v2, v1
	v_add_u32_e32 v2, 0x200, v34
	ds_write2_b32 v2, v0, v1 offset0:114 offset1:136
.LBB0_3:
	s_or_b64 exec, exec, s[2:3]
	s_load_dwordx2 s[2:3], s[0:1], 0x20
	s_load_dwordx2 s[4:5], s[0:1], 0x8
	v_mov_b32_e32 v0, 0
	s_waitcnt lgkmcnt(0)
	; wave barrier
	s_waitcnt lgkmcnt(0)
                                        ; implicit-def: $vgpr28
                                        ; implicit-def: $vgpr23
                                        ; implicit-def: $vgpr17
                                        ; implicit-def: $vgpr25
                                        ; implicit-def: $vgpr27
                                        ; implicit-def: $vgpr13
                                        ; implicit-def: $vgpr29
                                        ; implicit-def: $vgpr32
                                        ; implicit-def: $vgpr7
                                        ; implicit-def: $vgpr26
                                        ; implicit-def: $vgpr20
                                        ; implicit-def: $vgpr5
                                        ; implicit-def: $vgpr14
                                        ; implicit-def: $vgpr18
                                        ; implicit-def: $vgpr3
                                        ; implicit-def: $vgpr19
                                        ; implicit-def: $vgpr21
                                        ; implicit-def: $vgpr24
	s_and_saveexec_b64 s[0:1], vcc
	s_cbranch_execz .LBB0_5
; %bb.4:
	v_lshlrev_b32_e32 v0, 2, v8
	v_lshl_add_u32 v15, v30, 2, v0
	ds_read2_b32 v[0:1], v15 offset1:22
	ds_read2_b32 v[2:3], v15 offset0:44 offset1:66
	ds_read2_b32 v[4:5], v15 offset0:88 offset1:110
	;; [unrolled: 1-line block ×5, first 2 shown]
	ds_read_b32 v28, v15 offset:1056
	s_waitcnt lgkmcnt(0)
	v_lshrrev_b32_e32 v24, 16, v1
	v_lshrrev_b32_e32 v21, 16, v2
	;; [unrolled: 1-line block ×12, first 2 shown]
.LBB0_5:
	s_or_b64 exec, exec, s[0:1]
	v_sub_f16_e32 v76, v24, v23
	v_add_f16_e32 v46, v28, v1
	v_sub_f16_e32 v53, v1, v28
	s_movk_i32 s6, 0x3b15
	v_mul_f16_e32 v35, 0xb770, v76
	v_sub_f16_e32 v78, v21, v25
	v_add_f16_e32 v47, v23, v24
	v_mul_f16_e32 v36, 0xb770, v53
	v_fma_f16 v15, v46, s6, v35
	s_movk_i32 s7, 0x388b
	v_add_f16_e32 v51, v17, v2
	v_sub_f16_e32 v63, v2, v17
	v_mul_f16_e32 v37, 0xba95, v78
	v_add_f16_e32 v15, v15, v0
	v_fma_f16 v22, v47, s6, -v36
	v_mul_f16_e32 v39, 0xba95, v76
	v_add_f16_e32 v52, v25, v21
	v_mul_f16_e32 v38, 0xba95, v63
	v_fma_f16 v40, v51, s7, v37
	v_add_f16_sdwa v22, v22, v0 dst_sel:DWORD dst_unused:UNUSED_PAD src0_sel:DWORD src1_sel:WORD_1
	v_mul_f16_e32 v44, 0xba95, v53
	v_fma_f16 v33, v46, s7, v39
	v_add_f16_e32 v15, v40, v15
	v_fma_f16 v40, v52, s7, -v38
	s_mov_b32 s8, 0xb5ac
	v_mul_f16_e32 v42, 0xbb7b, v78
	v_add_f16_e32 v33, v33, v0
	v_fma_f16 v34, v47, s7, -v44
	v_add_f16_e32 v22, v40, v22
	v_mul_f16_e32 v50, 0xbb7b, v63
	v_fma_f16 v40, v51, s8, v42
	v_add_f16_sdwa v34, v34, v0 dst_sel:DWORD dst_unused:UNUSED_PAD src0_sel:DWORD src1_sel:WORD_1
	v_add_f16_e32 v33, v40, v33
	v_fma_f16 v40, v52, s8, -v50
	v_sub_f16_e32 v79, v19, v27
	v_add_f16_e32 v34, v40, v34
	v_add_f16_e32 v56, v16, v3
	v_sub_f16_e32 v67, v3, v16
	s_movk_i32 s9, 0x2fb7
	v_mul_f16_e32 v40, 0xbbf1, v79
	v_add_f16_e32 v57, v27, v19
	v_mul_f16_e32 v41, 0xbbf1, v67
	v_fma_f16 v43, v56, s9, v40
	v_add_f16_e32 v15, v43, v15
	v_fma_f16 v43, v57, s9, -v41
	s_mov_b32 s10, 0xbbc4
	v_mul_f16_e32 v48, 0xb3a8, v79
	v_add_f16_e32 v22, v43, v22
	v_mul_f16_e32 v55, 0xb3a8, v67
	v_fma_f16 v43, v56, s10, v48
	v_add_f16_e32 v33, v43, v33
	v_fma_f16 v43, v57, s10, -v55
	v_sub_f16_e32 v80, v18, v29
	v_add_f16_e32 v34, v43, v34
	v_add_f16_e32 v60, v13, v4
	v_sub_f16_e32 v72, v4, v13
	v_mul_f16_e32 v43, 0xbb7b, v80
	v_add_f16_e32 v61, v29, v18
	v_mul_f16_e32 v45, 0xbb7b, v72
	v_fma_f16 v49, v60, s8, v43
	v_add_f16_e32 v15, v49, v15
	v_fma_f16 v49, v61, s8, -v45
	s_mov_b32 s11, 0xb9fd
	v_mul_f16_e32 v54, 0x394e, v80
	v_add_f16_e32 v22, v49, v22
	v_fma_f16 v49, v60, s11, v54
	v_mul_f16_e32 v62, 0x394e, v72
	v_add_f16_e32 v33, v49, v33
	v_fma_f16 v49, v61, s11, -v62
	v_sub_f16_e32 v81, v14, v32
	v_add_f16_e32 v34, v49, v34
	v_add_f16_e32 v66, v12, v5
	v_mul_f16_e32 v49, 0xb94e, v81
	v_fma_f16 v58, v66, s11, v49
	v_sub_f16_e32 v75, v5, v12
	v_add_f16_e32 v15, v58, v15
	v_add_f16_e32 v68, v32, v14
	v_mul_f16_e32 v58, 0xb94e, v75
	v_fma_f16 v59, v68, s11, -v58
	v_mul_f16_e32 v64, 0x3bf1, v81
	v_add_f16_e32 v22, v59, v22
	v_fma_f16 v59, v66, s9, v64
	v_mul_f16_e32 v69, 0x3bf1, v75
	v_sub_f16_e32 v82, v20, v26
	v_add_f16_e32 v83, v59, v33
	v_fma_f16 v33, v68, s9, -v69
	v_add_f16_e32 v70, v7, v6
	v_mul_f16_e32 v59, 0xb3a8, v82
	v_sub_f16_e32 v77, v6, v7
	v_add_f16_e32 v74, v33, v34
	v_fma_f16 v33, v70, s10, v59
	v_add_f16_e32 v71, v26, v20
	v_mul_f16_e32 v65, 0xb3a8, v77
	v_add_f16_e32 v34, v33, v15
	v_fma_f16 v15, v71, s10, -v65
	v_mul_f16_e32 v73, 0x3770, v77
	v_add_f16_e32 v33, v15, v22
	v_fma_f16 v15, v71, s6, -v73
	v_add_f16_e32 v22, v15, v74
	v_mul_f16_e32 v74, 0x3770, v82
	v_fma_f16 v15, v70, s6, v74
	s_mov_b32 s24, 0xb770
	s_mov_b32 s16, 0xba95
	;; [unrolled: 1-line block ×5, first 2 shown]
	s_movk_i32 s22, 0x394e
	s_mov_b32 s17, 0xb94e
	s_movk_i32 s23, 0x3bf1
	s_movk_i32 s18, 0x3770
	v_add_f16_e32 v15, v15, v83
	s_waitcnt lgkmcnt(0)
	; wave barrier
	s_waitcnt lgkmcnt(0)
	s_and_saveexec_b64 s[0:1], vcc
	s_cbranch_execz .LBB0_7
; %bb.6:
	v_mul_f16_e32 v83, 0x2fb7, v47
	v_fma_f16 v84, v53, s23, v83
	v_mul_f16_e32 v85, 0xbbc4, v52
	s_movk_i32 s25, 0x33a8
	v_add_f16_sdwa v84, v84, v0 dst_sel:DWORD dst_unused:UNUSED_PAD src0_sel:DWORD src1_sel:WORD_1
	v_fma_f16 v86, v63, s25, v85
	v_add_f16_e32 v84, v86, v84
	v_mul_f16_e32 v86, 0xb5ac, v57
	v_fma_f16 v87, v67, s21, v86
	v_add_f16_e32 v84, v87, v84
	v_mul_f16_e32 v87, 0x3b15, v61
	;; [unrolled: 3-line block ×3, first 2 shown]
	s_movk_i32 s26, 0x3a95
	v_fma_f16 v89, v75, s26, v88
	v_add_f16_e32 v84, v89, v84
	v_mul_f16_e32 v89, 0xb9fd, v71
	v_fma_f16 v90, v77, s22, v89
	v_add_f16_e32 v84, v90, v84
	v_mul_f16_e32 v90, 0xbbf1, v76
	v_fma_f16 v91, v46, s9, v90
	v_mul_f16_e32 v92, 0xb3a8, v78
	v_add_f16_e32 v91, v91, v0
	v_fma_f16 v93, v51, s10, v92
	v_add_f16_e32 v91, v93, v91
	v_mul_f16_e32 v93, 0x3b7b, v79
	v_fma_f16 v94, v56, s8, v93
	v_add_f16_e32 v91, v94, v91
	v_mul_f16_e32 v94, 0x3770, v80
	;; [unrolled: 3-line block ×4, first 2 shown]
	v_fma_f16 v97, v70, s11, v96
	v_add_f16_e32 v91, v97, v91
	s_movk_i32 s27, 0x3b7b
	v_mul_f16_e32 v97, 0xb5ac, v47
	v_fma_f16 v98, v53, s27, v97
	v_mul_f16_e32 v99, 0xb9fd, v52
	v_add_f16_sdwa v98, v98, v0 dst_sel:DWORD dst_unused:UNUSED_PAD src0_sel:DWORD src1_sel:WORD_1
	v_fma_f16 v100, v63, s17, v99
	v_add_f16_e32 v98, v100, v98
	v_mul_f16_e32 v100, 0x3b15, v57
	v_fma_f16 v101, v67, s24, v100
	v_add_f16_e32 v98, v101, v98
	v_mul_f16_e32 v101, 0x2fb7, v61
	;; [unrolled: 3-line block ×5, first 2 shown]
	v_fma_f16 v105, v46, s8, v104
	v_mul_f16_e32 v106, 0x394e, v78
	v_add_f16_e32 v105, v105, v0
	v_fma_f16 v107, v51, s11, v106
	v_add_f16_e32 v105, v107, v105
	v_mul_f16_e32 v107, 0x3770, v79
	v_fma_f16 v108, v56, s6, v107
	v_add_f16_e32 v105, v108, v105
	v_mul_f16_e32 v108, 0xbbf1, v80
	;; [unrolled: 3-line block ×5, first 2 shown]
	v_fma_f16 v112, v53, s22, v111
	v_mul_f16_e32 v113, 0x2fb7, v52
	v_add_f16_sdwa v112, v112, v0 dst_sel:DWORD dst_unused:UNUSED_PAD src0_sel:DWORD src1_sel:WORD_1
	v_fma_f16 v114, v63, s20, v113
	v_add_f16_e32 v112, v114, v112
	v_mul_f16_e32 v114, 0x388b, v57
	v_fma_f16 v115, v67, s26, v114
	v_add_f16_e32 v112, v115, v112
	v_mul_f16_e32 v115, 0xbbc4, v61
	v_fma_f16 v116, v72, s19, v115
	v_add_f16_e32 v112, v116, v112
	v_mul_f16_e32 v116, 0x3b15, v68
	v_fma_f16 v117, v75, s24, v116
	v_add_f16_e32 v112, v117, v112
	v_mul_f16_e32 v117, 0xb5ac, v71
	v_fma_f16 v118, v77, s27, v117
	v_add_f16_e32 v112, v118, v112
	v_mul_f16_e32 v118, 0xb94e, v76
	v_fma_f16 v119, v46, s11, v118
	v_mul_f16_e32 v120, 0x3bf1, v78
	v_add_f16_e32 v119, v119, v0
	v_fma_f16 v121, v51, s9, v120
	v_add_f16_e32 v119, v121, v119
	v_mul_f16_e32 v121, 0xba95, v79
	v_fma_f16 v122, v56, s7, v121
	v_add_f16_e32 v119, v122, v119
	v_mul_f16_e32 v122, 0x33a8, v80
	;; [unrolled: 3-line block ×5, first 2 shown]
	v_fma_f16 v126, v53, s25, v125
	v_mul_f16_e32 v127, 0x3b15, v52
	v_add_f16_sdwa v126, v126, v0 dst_sel:DWORD dst_unused:UNUSED_PAD src0_sel:DWORD src1_sel:WORD_1
	v_fma_f16 v128, v63, s24, v127
	v_add_f16_e32 v126, v128, v126
	v_mul_f16_e32 v128, 0xb9fd, v57
	v_fma_f16 v129, v67, s22, v128
	v_add_f16_e32 v126, v129, v126
	v_mul_f16_e32 v129, 0x388b, v61
	;; [unrolled: 3-line block ×4, first 2 shown]
	v_fma_f16 v132, v77, s20, v131
	v_mul_f16_e32 v76, 0xb3a8, v76
	v_add_f16_e32 v126, v132, v126
	v_fma_f16 v132, v46, s10, v76
	v_mul_f16_e32 v78, 0x3770, v78
	v_fma_f16 v76, v46, s10, -v76
	v_fma_f16 v133, v51, s6, v78
	v_mul_f16_e32 v79, 0xb94e, v79
	v_add_f16_e32 v76, v76, v0
	v_fma_f16 v78, v51, s6, -v78
	v_mul_f16_e32 v80, 0x3a95, v80
	v_add_f16_e32 v76, v78, v76
	v_fma_f16 v78, v56, s11, -v79
	;; [unrolled: 3-line block ×4, first 2 shown]
	v_add_f16_e32 v76, v78, v76
	v_fma_f16 v78, v70, s9, -v82
	v_add_f16_e32 v132, v132, v0
	v_add_f16_e32 v76, v78, v76
	v_fma_f16 v78, v53, s17, v111
	v_add_f16_e32 v132, v133, v132
	v_fma_f16 v133, v56, s11, v79
	v_add_f16_sdwa v78, v78, v0 dst_sel:DWORD dst_unused:UNUSED_PAD src0_sel:DWORD src1_sel:WORD_1
	v_fma_f16 v79, v63, s23, v113
	v_add_f16_e32 v78, v79, v78
	v_fma_f16 v79, v67, s16, v114
	v_add_f16_e32 v78, v79, v78
	;; [unrolled: 2-line block ×5, first 2 shown]
	v_fma_f16 v79, v46, s11, -v118
	v_add_f16_e32 v132, v133, v132
	v_fma_f16 v133, v60, s7, v80
	v_add_f16_e32 v79, v79, v0
	v_fma_f16 v80, v51, s9, -v120
	v_add_f16_e32 v79, v80, v79
	v_fma_f16 v80, v56, s7, -v121
	;; [unrolled: 2-line block ×5, first 2 shown]
	v_fma_f16 v125, v53, s19, v125
	v_add_f16_e32 v79, v80, v79
	v_fma_f16 v80, v53, s21, v97
	v_fma_f16 v53, v53, s20, v83
	v_add_f16_e32 v132, v133, v132
	v_fma_f16 v133, v66, s8, v81
	v_fma_f16 v127, v63, s18, v127
	v_add_f16_sdwa v80, v80, v0 dst_sel:DWORD dst_unused:UNUSED_PAD src0_sel:DWORD src1_sel:WORD_1
	v_fma_f16 v81, v63, s22, v99
	v_fma_f16 v63, v63, s19, v85
	v_add_f16_sdwa v53, v53, v0 dst_sel:DWORD dst_unused:UNUSED_PAD src0_sel:DWORD src1_sel:WORD_1
	v_add_f16_e32 v80, v81, v80
	v_fma_f16 v81, v67, s18, v100
	v_add_f16_e32 v53, v63, v53
	v_fma_f16 v63, v67, s27, v86
	;; [unrolled: 2-line block ×4, first 2 shown]
	v_add_f16_sdwa v125, v125, v0 dst_sel:DWORD dst_unused:UNUSED_PAD src0_sel:DWORD src1_sel:WORD_1
	v_add_f16_e32 v80, v81, v80
	v_fma_f16 v81, v75, s25, v102
	v_add_f16_e32 v53, v63, v53
	v_fma_f16 v63, v75, s16, v88
	;; [unrolled: 2-line block ×6, first 2 shown]
	v_add_f16_e32 v80, v81, v80
	v_fma_f16 v81, v46, s8, -v104
	v_mul_f16_e32 v67, 0x3b15, v46
	v_add_f16_e32 v53, v63, v53
	v_mul_f16_e32 v63, 0x3b15, v47
	v_fma_f16 v72, v46, s9, -v90
	v_mul_f16_e32 v46, 0x388b, v46
	v_mul_f16_e32 v47, 0x388b, v47
	v_add_f16_e32 v132, v133, v132
	v_fma_f16 v133, v70, s9, v82
	v_add_f16_e32 v81, v81, v0
	v_fma_f16 v82, v51, s11, -v106
	v_add_f16_e32 v44, v44, v47
	v_sub_f16_e32 v39, v46, v39
	v_add_f16_e32 v36, v36, v63
	v_sub_f16_e32 v35, v67, v35
	v_add_f16_e32 v81, v82, v81
	v_fma_f16 v82, v56, s6, -v107
	v_add_f16_e32 v72, v72, v0
	v_add_f16_sdwa v44, v44, v0 dst_sel:DWORD dst_unused:UNUSED_PAD src0_sel:DWORD src1_sel:WORD_1
	v_add_f16_e32 v39, v39, v0
	v_add_f16_sdwa v36, v36, v0 dst_sel:DWORD dst_unused:UNUSED_PAD src0_sel:DWORD src1_sel:WORD_1
	v_add_f16_e32 v35, v35, v0
	v_add_f16_e32 v1, v1, v0
	v_add_f16_sdwa v0, v24, v0 dst_sel:DWORD dst_unused:UNUSED_PAD src0_sel:DWORD src1_sel:WORD_1
	v_add_f16_e32 v81, v82, v81
	v_fma_f16 v82, v60, s9, -v108
	v_add_f16_e32 v1, v2, v1
	v_add_f16_e32 v0, v21, v0
	;; [unrolled: 1-line block ×3, first 2 shown]
	v_fma_f16 v127, v75, s21, v130
	v_add_f16_e32 v81, v82, v81
	v_fma_f16 v82, v66, s10, -v109
	v_fma_f16 v75, v51, s10, -v92
	v_add_f16_e32 v1, v3, v1
	v_add_f16_e32 v0, v19, v0
	v_add_f16_e32 v125, v127, v125
	v_fma_f16 v127, v77, s23, v131
	v_add_f16_e32 v81, v82, v81
	v_fma_f16 v82, v70, s7, -v110
	v_add_f16_e32 v72, v75, v72
	v_fma_f16 v77, v56, s8, -v93
	v_add_f16_e32 v1, v4, v1
	v_add_f16_e32 v0, v18, v0
	;; [unrolled: 1-line block ×4, first 2 shown]
	v_fma_f16 v82, v60, s6, -v94
	v_add_f16_e32 v1, v5, v1
	v_add_f16_e32 v0, v14, v0
	v_mul_f16_e32 v75, 0x388b, v51
	v_mul_f16_e32 v77, 0x388b, v52
	v_add_f16_e32 v72, v82, v72
	v_fma_f16 v83, v66, s7, -v95
	v_add_f16_e32 v1, v6, v1
	v_add_f16_e32 v0, v20, v0
	v_mul_f16_e32 v51, 0xb5ac, v51
	v_mul_f16_e32 v52, 0xb5ac, v52
	;; [unrolled: 1-line block ×3, first 2 shown]
	v_add_f16_e32 v72, v83, v72
	v_mul_f16_e32 v83, 0x2fb7, v57
	v_fma_f16 v85, v70, s11, -v96
	v_add_f16_e32 v38, v38, v77
	v_sub_f16_e32 v37, v75, v37
	v_add_f16_e32 v1, v7, v1
	v_add_f16_e32 v0, v26, v0
	v_mul_f16_e32 v56, 0xbbc4, v56
	v_mul_f16_e32 v57, 0xbbc4, v57
	v_add_f16_e32 v72, v85, v72
	v_mul_f16_e32 v85, 0xb5ac, v60
	v_mul_f16_e32 v47, 0xb5ac, v61
	v_add_f16_e32 v50, v50, v52
	v_sub_f16_e32 v42, v51, v42
	v_add_f16_e32 v36, v38, v36
	v_add_f16_e32 v38, v41, v83
	;; [unrolled: 1-line block ×3, first 2 shown]
	v_sub_f16_e32 v37, v82, v40
	v_add_f16_e32 v1, v12, v1
	v_add_f16_e32 v0, v32, v0
	v_mul_f16_e32 v60, 0xb9fd, v60
	v_mul_f16_e32 v61, 0xb9fd, v61
	;; [unrolled: 1-line block ×3, first 2 shown]
	v_add_f16_e32 v44, v50, v44
	v_mul_f16_e32 v50, 0xb9fd, v68
	v_add_f16_e32 v55, v55, v57
	v_add_f16_e32 v39, v42, v39
	v_sub_f16_e32 v42, v56, v48
	v_add_f16_e32 v36, v38, v36
	v_add_f16_e32 v38, v45, v47
	;; [unrolled: 1-line block ×3, first 2 shown]
	v_sub_f16_e32 v37, v85, v43
	v_add_f16_e32 v1, v13, v1
	v_add_f16_e32 v0, v29, v0
	v_mul_f16_e32 v66, 0x2fb7, v66
	v_mul_f16_e32 v68, 0x2fb7, v68
	;; [unrolled: 1-line block ×3, first 2 shown]
	v_add_f16_e32 v44, v55, v44
	v_mul_f16_e32 v55, 0xbbc4, v71
	v_add_f16_e32 v61, v62, v61
	v_add_f16_e32 v39, v42, v39
	v_sub_f16_e32 v42, v60, v54
	v_add_f16_e32 v36, v38, v36
	v_add_f16_e32 v38, v58, v50
	;; [unrolled: 1-line block ×3, first 2 shown]
	v_sub_f16_e32 v37, v52, v49
	v_add_f16_e32 v1, v16, v1
	v_add_f16_e32 v0, v27, v0
	v_mul_f16_e32 v70, 0x3b15, v70
	v_mul_f16_e32 v71, 0x3b15, v71
	v_add_f16_e32 v44, v61, v44
	v_add_f16_e32 v61, v69, v68
	;; [unrolled: 1-line block ×3, first 2 shown]
	v_sub_f16_e32 v42, v66, v64
	v_add_f16_e32 v36, v38, v36
	v_add_f16_e32 v38, v65, v55
	;; [unrolled: 1-line block ×3, first 2 shown]
	v_sub_f16_e32 v37, v57, v59
	v_add_f16_e32 v1, v17, v1
	v_add_f16_e32 v0, v25, v0
	;; [unrolled: 1-line block ×5, first 2 shown]
	v_sub_f16_e32 v42, v70, v74
	v_add_f16_e32 v36, v38, v36
	v_add_f16_e32 v35, v37, v35
	;; [unrolled: 1-line block ×4, first 2 shown]
	v_mul_lo_u16_e32 v2, 13, v8
	v_add_f16_e32 v44, v61, v44
	v_add_f16_e32 v39, v42, v39
	v_add_lshl_u32 v2, v30, v2, 2
	v_pack_b32_f16 v3, v35, v36
	v_pack_b32_f16 v0, v1, v0
	ds_write2_b32 v2, v0, v3 offset1:1
	v_pack_b32_f16 v0, v39, v44
	v_pack_b32_f16 v1, v72, v53
	v_add_f16_e32 v132, v133, v132
	v_add_f16_e32 v125, v127, v125
	ds_write2_b32 v2, v0, v1 offset0:2 offset1:3
	v_pack_b32_f16 v0, v79, v78
	v_pack_b32_f16 v1, v81, v80
	ds_write2_b32 v2, v1, v0 offset0:4 offset1:5
	v_pack_b32_f16 v0, v132, v126
	v_pack_b32_f16 v1, v76, v125
	;; [unrolled: 3-line block ×3, first 2 shown]
	s_mov_b32 s6, 0x5040100
	ds_write2_b32 v2, v1, v0 offset0:8 offset1:9
	v_pack_b32_f16 v0, v91, v84
	v_perm_b32 v1, v22, v15, s6
	ds_write2_b32 v2, v0, v1 offset0:10 offset1:11
	v_perm_b32 v0, v33, v34, s6
	ds_write_b32 v2, v0 offset:48
.LBB0_7:
	s_or_b64 exec, exec, s[0:1]
	v_lshl_add_u64 v[16:17], v[8:9], 0, -13
	v_cmp_gt_u16_e64 s[0:1], 13, v8
	s_load_dwordx4 s[8:11], s[2:3], 0x0
	s_waitcnt lgkmcnt(0)
	v_cndmask_b32_e64 v23, v16, v8, s[0:1]
	v_mul_hi_i32_i24_e32 v1, 10, v23
	v_mul_i32_i24_e32 v0, 10, v23
	v_lshl_add_u64 v[18:19], v[0:1], 2, s[4:5]
	; wave barrier
	global_load_dwordx4 v[0:3], v[18:19], off
	global_load_dwordx4 v[4:7], v[18:19], off offset:16
	global_load_dwordx2 v[12:13], v[18:19], off offset:32
	v_add_lshl_u32 v32, v30, v8, 2
	ds_read2_b32 v[18:19], v32 offset1:26
	ds_read2_b32 v[20:21], v32 offset0:52 offset1:78
	ds_read2_b32 v[24:25], v32 offset0:104 offset1:130
	;; [unrolled: 1-line block ×4, first 2 shown]
	ds_read_b32 v14, v32 offset:1040
	s_waitcnt lgkmcnt(5)
	v_lshrrev_b32_e32 v35, 16, v19
	s_waitcnt lgkmcnt(4)
	v_lshrrev_b32_e32 v36, 16, v20
	v_lshrrev_b32_e32 v37, 16, v21
	s_waitcnt lgkmcnt(3)
	v_lshrrev_b32_e32 v38, 16, v24
	;; [unrolled: 3-line block ×4, first 2 shown]
	s_waitcnt lgkmcnt(0)
	v_lshrrev_b32_e32 v44, 16, v14
	v_lshrrev_b32_e32 v43, 16, v29
	s_movk_i32 s2, 0x3abb
	s_movk_i32 s3, 0x36a6
	s_mov_b32 s6, 0xb08e
	s_mov_b32 s7, 0xb93d
	;; [unrolled: 1-line block ×3, first 2 shown]
	s_waitcnt lgkmcnt(0)
	; wave barrier
	s_waitcnt vmcnt(2)
	v_mul_f16_sdwa v46, v19, v0 dst_sel:DWORD dst_unused:UNUSED_PAD src0_sel:DWORD src1_sel:WORD_1
	v_mul_f16_sdwa v45, v35, v0 dst_sel:DWORD dst_unused:UNUSED_PAD src0_sel:DWORD src1_sel:WORD_1
	;; [unrolled: 1-line block ×3, first 2 shown]
	v_fma_f16 v35, v35, v0, v46
	v_mul_f16_sdwa v47, v36, v1 dst_sel:DWORD dst_unused:UNUSED_PAD src0_sel:DWORD src1_sel:WORD_1
	v_mul_f16_sdwa v50, v21, v2 dst_sel:DWORD dst_unused:UNUSED_PAD src0_sel:DWORD src1_sel:WORD_1
	v_fma_f16 v19, v19, v0, -v45
	v_fma_f16 v36, v36, v1, v48
	v_add_f16_sdwa v46, v18, v35 dst_sel:DWORD dst_unused:UNUSED_PAD src0_sel:WORD_1 src1_sel:DWORD
	v_mul_f16_sdwa v49, v37, v2 dst_sel:DWORD dst_unused:UNUSED_PAD src0_sel:DWORD src1_sel:WORD_1
	v_mul_f16_sdwa v52, v24, v3 dst_sel:DWORD dst_unused:UNUSED_PAD src0_sel:DWORD src1_sel:WORD_1
	v_fma_f16 v20, v20, v1, -v47
	v_fma_f16 v37, v37, v2, v50
	v_add_f16_e32 v45, v18, v19
	v_add_f16_e32 v46, v46, v36
	v_mul_f16_sdwa v51, v38, v3 dst_sel:DWORD dst_unused:UNUSED_PAD src0_sel:DWORD src1_sel:WORD_1
	s_waitcnt vmcnt(1)
	v_mul_f16_sdwa v54, v25, v4 dst_sel:DWORD dst_unused:UNUSED_PAD src0_sel:DWORD src1_sel:WORD_1
	v_fma_f16 v21, v21, v2, -v49
	v_fma_f16 v38, v38, v3, v52
	v_add_f16_e32 v45, v45, v20
	v_add_f16_e32 v46, v46, v37
	v_mul_f16_sdwa v53, v39, v4 dst_sel:DWORD dst_unused:UNUSED_PAD src0_sel:DWORD src1_sel:WORD_1
	v_mul_f16_sdwa v56, v26, v5 dst_sel:DWORD dst_unused:UNUSED_PAD src0_sel:DWORD src1_sel:WORD_1
	v_fma_f16 v24, v24, v3, -v51
	v_fma_f16 v39, v39, v4, v54
	v_add_f16_e32 v45, v45, v21
	v_add_f16_e32 v46, v46, v38
	v_mul_f16_sdwa v55, v40, v5 dst_sel:DWORD dst_unused:UNUSED_PAD src0_sel:DWORD src1_sel:WORD_1
	;; [unrolled: 6-line block ×3, first 2 shown]
	v_mul_f16_sdwa v60, v28, v7 dst_sel:DWORD dst_unused:UNUSED_PAD src0_sel:DWORD src1_sel:WORD_1
	s_waitcnt vmcnt(0)
	v_mul_f16_sdwa v64, v14, v13 dst_sel:DWORD dst_unused:UNUSED_PAD src0_sel:DWORD src1_sel:WORD_1
	v_fma_f16 v26, v26, v5, -v55
	v_fma_f16 v41, v41, v6, v58
	v_add_f16_e32 v45, v45, v25
	v_add_f16_e32 v46, v46, v40
	v_mul_f16_sdwa v59, v42, v7 dst_sel:DWORD dst_unused:UNUSED_PAD src0_sel:DWORD src1_sel:WORD_1
	v_mul_f16_sdwa v62, v29, v12 dst_sel:DWORD dst_unused:UNUSED_PAD src0_sel:DWORD src1_sel:WORD_1
	;; [unrolled: 1-line block ×3, first 2 shown]
	v_fma_f16 v27, v27, v6, -v57
	v_fma_f16 v42, v42, v7, v60
	v_fma_f16 v44, v44, v13, v64
	v_add_f16_e32 v45, v45, v26
	v_add_f16_e32 v46, v46, v41
	v_mul_f16_sdwa v61, v43, v12 dst_sel:DWORD dst_unused:UNUSED_PAD src0_sel:DWORD src1_sel:WORD_1
	v_fma_f16 v28, v28, v7, -v59
	v_fma_f16 v43, v43, v12, v62
	v_fma_f16 v14, v14, v13, -v63
	v_add_f16_e32 v48, v35, v44
	v_sub_f16_e32 v35, v35, v44
	v_add_f16_e32 v45, v45, v27
	v_add_f16_e32 v46, v46, v42
	v_fma_f16 v29, v29, v12, -v61
	v_add_f16_e32 v47, v19, v14
	v_sub_f16_e32 v19, v19, v14
	v_mul_f16_e32 v49, 0xb853, v35
	v_add_f16_e32 v45, v45, v28
	v_add_f16_e32 v46, v46, v43
	v_fma_f16 v50, v47, s2, -v49
	v_add_f16_e32 v45, v45, v29
	v_add_f16_e32 v44, v46, v44
	v_mul_f16_e32 v46, 0xb853, v19
	v_mul_f16_e32 v51, 0xbb47, v35
	;; [unrolled: 1-line block ×9, first 2 shown]
	v_add_f16_e32 v45, v45, v14
	v_add_f16_e32 v14, v18, v50
	v_fma_f16 v50, v48, s2, v46
	v_fma_f16 v49, v47, s2, v49
	v_fma_f16 v46, v48, s2, -v46
	v_fma_f16 v52, v47, s3, -v51
	v_fma_f16 v54, v48, s3, v53
	v_fma_f16 v51, v47, s3, v51
	v_fma_f16 v53, v48, s3, -v53
	v_fma_f16 v56, v47, s6, -v55
	;; [unrolled: 4-line block ×4, first 2 shown]
	v_fma_f16 v64, v48, s16, v19
	v_fma_f16 v35, v47, s16, v35
	v_fma_f16 v19, v48, s16, -v19
	v_add_f16_sdwa v50, v18, v50 dst_sel:DWORD dst_unused:UNUSED_PAD src0_sel:WORD_1 src1_sel:DWORD
	v_add_f16_e32 v49, v18, v49
	v_add_f16_sdwa v46, v18, v46 dst_sel:DWORD dst_unused:UNUSED_PAD src0_sel:WORD_1 src1_sel:DWORD
	v_add_f16_e32 v52, v18, v52
	;; [unrolled: 2-line block ×10, first 2 shown]
	v_sub_f16_e32 v20, v20, v29
	v_sub_f16_e32 v29, v36, v43
	v_add_f16_e32 v47, v36, v43
	v_mul_f16_e32 v36, 0xbb47, v29
	v_fma_f16 v43, v19, s3, -v36
	v_add_f16_e32 v14, v43, v14
	v_mul_f16_e32 v43, 0xbb47, v20
	v_fma_f16 v48, v47, s3, v43
	v_fma_f16 v43, v47, s3, -v43
	v_fma_f16 v36, v19, s3, v36
	v_add_f16_e32 v43, v43, v46
	v_mul_f16_e32 v46, 0xba0c, v29
	v_add_f16_e32 v48, v48, v50
	v_add_f16_e32 v36, v36, v49
	v_fma_f16 v49, v19, s7, -v46
	v_mul_f16_e32 v50, 0xba0c, v20
	v_fma_f16 v46, v19, s7, v46
	v_add_f16_e32 v49, v49, v52
	v_fma_f16 v52, v47, s7, v50
	v_add_f16_e32 v46, v46, v51
	v_fma_f16 v50, v47, s7, -v50
	v_mul_f16_e32 v51, 0x3482, v29
	v_add_f16_e32 v52, v52, v54
	v_add_f16_e32 v50, v50, v53
	v_fma_f16 v53, v19, s16, -v51
	v_mul_f16_e32 v54, 0x3482, v20
	v_fma_f16 v51, v19, s16, v51
	v_add_f16_e32 v53, v53, v56
	v_fma_f16 v56, v47, s16, v54
	v_add_f16_e32 v51, v51, v55
	v_fma_f16 v54, v47, s16, -v54
	v_mul_f16_e32 v55, 0x3beb, v29
	v_add_f16_e32 v56, v56, v58
	v_add_f16_e32 v54, v54, v57
	v_fma_f16 v57, v19, s6, -v55
	v_mul_f16_e32 v58, 0x3beb, v20
	v_add_f16_e32 v57, v57, v60
	v_fma_f16 v60, v47, s6, v58
	v_fma_f16 v58, v47, s6, -v58
	v_mul_f16_e32 v20, 0x3853, v20
	v_fma_f16 v55, v19, s6, v55
	v_add_f16_e32 v58, v58, v61
	v_mul_f16_e32 v29, 0x3853, v29
	v_fma_f16 v61, v47, s2, v20
	v_fma_f16 v20, v47, s2, -v20
	v_add_f16_e32 v55, v55, v59
	v_fma_f16 v59, v19, s2, -v29
	v_fma_f16 v19, v19, s2, v29
	v_add_f16_e32 v18, v20, v18
	v_add_f16_e32 v20, v21, v28
	v_sub_f16_e32 v21, v21, v28
	v_sub_f16_e32 v28, v37, v42
	v_add_f16_e32 v19, v19, v35
	v_mul_f16_e32 v35, 0xbbeb, v28
	v_add_f16_e32 v29, v37, v42
	v_fma_f16 v37, v20, s6, -v35
	v_add_f16_e32 v14, v37, v14
	v_mul_f16_e32 v37, 0xbbeb, v21
	v_fma_f16 v35, v20, s6, v35
	v_fma_f16 v42, v29, s6, v37
	v_add_f16_e32 v35, v35, v36
	v_fma_f16 v36, v29, s6, -v37
	v_mul_f16_e32 v37, 0x3482, v28
	v_add_f16_e32 v36, v36, v43
	v_fma_f16 v43, v20, s16, -v37
	v_mul_f16_e32 v47, 0x3482, v21
	v_fma_f16 v37, v20, s16, v37
	v_add_f16_e32 v42, v42, v48
	v_fma_f16 v48, v29, s16, v47
	v_add_f16_e32 v37, v37, v46
	v_fma_f16 v46, v29, s16, -v47
	v_mul_f16_e32 v47, 0x3b47, v28
	v_add_f16_e32 v43, v43, v49
	v_fma_f16 v49, v20, s3, -v47
	v_fma_f16 v47, v20, s3, v47
	v_add_f16_e32 v46, v46, v50
	v_mul_f16_e32 v50, 0x3b47, v21
	v_add_f16_e32 v47, v47, v51
	v_mul_f16_e32 v51, 0xb853, v28
	v_add_f16_e32 v48, v48, v52
	v_add_f16_e32 v49, v49, v53
	v_fma_f16 v52, v29, s3, v50
	v_fma_f16 v50, v29, s3, -v50
	v_fma_f16 v53, v20, s2, -v51
	v_fma_f16 v51, v20, s2, v51
	v_mul_f16_e32 v28, 0xba0c, v28
	v_add_f16_e32 v50, v50, v54
	v_mul_f16_e32 v54, 0xb853, v21
	v_add_f16_e32 v51, v51, v55
	v_fma_f16 v55, v20, s7, -v28
	v_mul_f16_e32 v21, 0xba0c, v21
	v_fma_f16 v20, v20, s7, v28
	v_add_f16_e32 v19, v20, v19
	v_fma_f16 v20, v29, s7, -v21
	v_add_f16_e32 v18, v20, v18
	v_add_f16_e32 v20, v24, v27
	v_sub_f16_e32 v24, v24, v27
	v_sub_f16_e32 v27, v38, v41
	v_mul_f16_e32 v28, 0xba0c, v27
	v_add_f16_e32 v52, v52, v56
	v_add_f16_e32 v53, v53, v57
	v_fma_f16 v56, v29, s2, v54
	v_fma_f16 v54, v29, s2, -v54
	v_fma_f16 v57, v29, s7, v21
	v_fma_f16 v29, v20, s7, -v28
	v_add_f16_e32 v21, v38, v41
	v_add_f16_e32 v14, v29, v14
	v_mul_f16_e32 v29, 0xba0c, v24
	v_fma_f16 v28, v20, s7, v28
	v_fma_f16 v38, v21, s7, v29
	v_add_f16_e32 v28, v28, v35
	v_fma_f16 v29, v21, s7, -v29
	v_mul_f16_e32 v35, 0x3beb, v27
	v_add_f16_e32 v29, v29, v36
	v_fma_f16 v36, v20, s6, -v35
	v_mul_f16_e32 v41, 0x3beb, v24
	v_fma_f16 v35, v20, s6, v35
	v_add_f16_e32 v38, v38, v42
	v_fma_f16 v42, v21, s6, v41
	v_add_f16_e32 v35, v35, v37
	v_fma_f16 v37, v21, s6, -v41
	v_mul_f16_e32 v41, 0xb853, v27
	v_add_f16_e32 v36, v36, v43
	v_fma_f16 v43, v20, s2, -v41
	v_fma_f16 v41, v20, s2, v41
	v_add_f16_e32 v37, v37, v46
	v_mul_f16_e32 v46, 0xb853, v24
	v_add_f16_e32 v41, v41, v47
	v_mul_f16_e32 v47, 0xb482, v27
	v_add_f16_e32 v42, v42, v48
	v_add_f16_e32 v43, v43, v49
	v_fma_f16 v48, v21, s2, v46
	v_fma_f16 v46, v21, s2, -v46
	v_fma_f16 v49, v20, s16, -v47
	v_fma_f16 v47, v20, s16, v47
	v_mul_f16_e32 v27, 0x3b47, v27
	v_add_f16_e32 v46, v46, v50
	v_mul_f16_e32 v50, 0xb482, v24
	v_add_f16_e32 v47, v47, v51
	v_fma_f16 v51, v20, s3, -v27
	v_mul_f16_e32 v24, 0x3b47, v24
	v_fma_f16 v20, v20, s3, v27
	v_add_f16_e32 v19, v20, v19
	v_fma_f16 v20, v21, s3, -v24
	v_add_f16_e32 v49, v49, v53
	v_fma_f16 v53, v21, s3, v24
	v_add_f16_e32 v18, v20, v18
	v_add_f16_e32 v20, v25, v26
	v_sub_f16_e32 v24, v25, v26
	v_sub_f16_e32 v25, v39, v40
	v_mul_f16_e32 v26, 0xb482, v25
	v_add_f16_e32 v48, v48, v52
	v_fma_f16 v52, v21, s16, v50
	v_fma_f16 v50, v21, s16, -v50
	v_add_f16_e32 v21, v39, v40
	v_fma_f16 v27, v20, s16, -v26
	v_mul_f16_e32 v39, 0xb482, v24
	v_add_f16_e32 v61, v61, v64
	v_add_f16_e32 v27, v27, v14
	v_fma_f16 v14, v21, s16, v39
	v_add_f16_e32 v54, v54, v58
	v_add_f16_e32 v57, v57, v61
	;; [unrolled: 1-line block ×3, first 2 shown]
	v_fma_f16 v14, v20, s16, v26
	v_fma_f16 v26, v21, s16, -v39
	v_add_f16_e32 v50, v50, v54
	v_add_f16_e32 v54, v53, v57
	;; [unrolled: 1-line block ×3, first 2 shown]
	v_mul_f16_e32 v26, 0x3853, v25
	v_add_f16_e32 v14, v14, v28
	v_fma_f16 v28, v20, s2, -v26
	v_mul_f16_e32 v29, 0x3853, v24
	v_fma_f16 v26, v20, s2, v26
	v_add_f16_e32 v28, v28, v36
	v_fma_f16 v36, v21, s2, v29
	v_add_f16_e32 v26, v26, v35
	v_mul_f16_e32 v35, 0xba0c, v25
	v_add_f16_e32 v39, v36, v42
	v_fma_f16 v29, v21, s2, -v29
	v_fma_f16 v36, v20, s7, -v35
	v_add_f16_e32 v29, v29, v37
	v_add_f16_e32 v37, v36, v43
	v_mul_f16_e32 v36, 0xba0c, v24
	v_fma_f16 v40, v21, s7, v36
	v_fma_f16 v35, v20, s7, v35
	v_fma_f16 v36, v21, s7, -v36
	v_add_f16_e32 v35, v35, v41
	v_add_f16_e32 v41, v36, v46
	v_mul_f16_e32 v36, 0x3b47, v25
	v_fma_f16 v42, v20, s3, -v36
	v_mul_f16_e32 v43, 0x3b47, v24
	v_fma_f16 v36, v20, s3, v36
	v_add_f16_e32 v47, v36, v47
	v_fma_f16 v36, v21, s3, -v43
	v_mul_f16_e32 v25, 0xbbeb, v25
	v_fma_f16 v46, v21, s3, v43
	v_add_f16_e32 v43, v36, v50
	;; [unrolled: 4-line block ×3, first 2 shown]
	v_add_f16_e32 v19, v20, v19
	v_fma_f16 v20, v21, s6, -v24
	v_add_f16_e32 v55, v55, v59
	v_add_f16_e32 v18, v20, v18
	v_mov_b32_e32 v20, 0x8f
	v_cmp_lt_u16_e64 s[2:3], 12, v8
	v_add_f16_e32 v60, v60, v62
	v_add_f16_e32 v51, v51, v55
	v_cndmask_b32_e64 v20, 0, v20, s[2:3]
	v_add_f16_e32 v56, v56, v60
	v_add_f16_e32 v40, v40, v48
	v_add_f16_e32 v48, v36, v51
	v_fma_f16 v36, v21, s6, v24
	v_add_u32_e32 v20, v23, v20
	v_add_f16_e32 v52, v52, v56
	v_add_f16_e32 v42, v42, v49
	;; [unrolled: 1-line block ×3, first 2 shown]
	v_add_lshl_u32 v36, v30, v20, 2
	v_pack_b32_f16 v20, v45, v44
	v_pack_b32_f16 v21, v27, v38
	;; [unrolled: 1-line block ×4, first 2 shown]
	v_add_f16_e32 v46, v46, v52
	ds_write2_b32 v36, v20, v21 offset1:13
	v_pack_b32_f16 v20, v28, v39
	v_pack_b32_f16 v21, v37, v40
	ds_write2_b32 v36, v18, v19 offset0:78 offset1:91
	v_pack_b32_f16 v18, v35, v41
	v_pack_b32_f16 v19, v26, v29
	ds_write2_b32 v36, v20, v21 offset0:26 offset1:39
	;; [unrolled: 3-line block ×3, first 2 shown]
	v_pack_b32_f16 v18, v14, v53
	ds_write2_b32 v36, v20, v21 offset0:52 offset1:65
	ds_write_b32 v36, v18 offset:520
	s_waitcnt lgkmcnt(0)
	; wave barrier
	s_waitcnt lgkmcnt(0)
	ds_read2_b32 v[26:27], v32 offset1:26
	ds_read2_b32 v[24:25], v32 offset0:104 offset1:143
	ds_read2_b32 v[18:19], v32 offset0:169 offset1:195
	;; [unrolled: 1-line block ×4, first 2 shown]
	s_and_saveexec_b64 s[2:3], s[0:1]
	s_cbranch_execz .LBB0_9
; %bb.8:
	v_add_u32_e32 v14, 0x200, v32
	ds_read2_b32 v[14:15], v14 offset0:2 offset1:145
	s_mov_b64 s[6:7], 0x82
	v_lshl_add_u64 v[16:17], v[8:9], 0, s[6:7]
	s_waitcnt lgkmcnt(0)
	v_lshrrev_b32_e32 v53, 16, v14
	v_lshrrev_b32_e32 v22, 16, v15
.LBB0_9:
	s_or_b64 exec, exec, s[2:3]
	global_load_dword v37, v11, s[4:5] offset:520
	global_load_dword v38, v11, s[4:5] offset:624
	;; [unrolled: 1-line block ×5, first 2 shown]
	v_lshl_add_u64 v[16:17], v[16:17], 2, s[4:5]
	global_load_dword v9, v[16:17], off offset:520
	s_waitcnt lgkmcnt(3)
	v_lshrrev_b32_e32 v16, 16, v25
	s_waitcnt lgkmcnt(2)
	v_lshrrev_b32_e32 v17, 16, v18
	v_lshrrev_b32_e32 v23, 16, v19
	s_waitcnt lgkmcnt(0)
	v_lshrrev_b32_e32 v44, 16, v20
	v_lshrrev_b32_e32 v45, 16, v21
	;; [unrolled: 1-line block ×7, first 2 shown]
	v_lshl_add_u32 v35, v8, 2, v31
	v_add_u32_e32 v42, v11, v31
	s_waitcnt vmcnt(5)
	v_mul_f16_sdwa v46, v16, v37 dst_sel:DWORD dst_unused:UNUSED_PAD src0_sel:DWORD src1_sel:WORD_1
	v_mul_f16_sdwa v49, v25, v37 dst_sel:DWORD dst_unused:UNUSED_PAD src0_sel:DWORD src1_sel:WORD_1
	s_waitcnt vmcnt(4)
	v_mul_f16_sdwa v50, v17, v38 dst_sel:DWORD dst_unused:UNUSED_PAD src0_sel:DWORD src1_sel:WORD_1
	v_mul_f16_sdwa v54, v18, v38 dst_sel:DWORD dst_unused:UNUSED_PAD src0_sel:DWORD src1_sel:WORD_1
	;; [unrolled: 3-line block ×5, first 2 shown]
	v_fma_f16 v25, v25, v37, -v46
	v_fma_f16 v16, v16, v37, v49
	v_fma_f16 v18, v18, v38, -v50
	v_fma_f16 v46, v17, v38, v54
	;; [unrolled: 2-line block ×4, first 2 shown]
	v_fma_f16 v55, v45, v41, v60
	s_waitcnt vmcnt(0)
	v_mul_f16_sdwa v17, v22, v9 dst_sel:DWORD dst_unused:UNUSED_PAD src0_sel:DWORD src1_sel:WORD_1
	v_mul_f16_sdwa v19, v15, v9 dst_sel:DWORD dst_unused:UNUSED_PAD src0_sel:DWORD src1_sel:WORD_1
	v_fma_f16 v54, v21, v41, -v59
	v_fma_f16 v15, v15, v9, -v17
	v_fma_f16 v56, v22, v9, v19
	v_sub_f16_e32 v17, v26, v25
	v_sub_f16_e32 v44, v43, v16
	;; [unrolled: 1-line block ×10, first 2 shown]
	v_fma_f16 v16, v26, 2.0, -v17
	v_fma_f16 v43, v43, 2.0, -v44
	;; [unrolled: 1-line block ×7, first 2 shown]
	v_sub_f16_e32 v27, v14, v15
	v_sub_f16_e32 v52, v53, v56
	v_fma_f16 v20, v28, 2.0, -v21
	v_fma_f16 v48, v48, 2.0, -v46
	;; [unrolled: 1-line block ×3, first 2 shown]
	v_pack_b32_f16 v28, v19, v45
	v_pack_b32_f16 v54, v21, v46
	;; [unrolled: 1-line block ×3, first 2 shown]
	v_fma_f16 v26, v14, 2.0, -v27
	v_fma_f16 v14, v53, 2.0, -v52
	v_pack_b32_f16 v53, v16, v43
	v_pack_b32_f16 v57, v18, v47
	;; [unrolled: 1-line block ×5, first 2 shown]
	ds_write2_b32 v35, v28, v54 offset0:169 offset1:195
	v_pack_b32_f16 v28, v22, v29
	ds_write_b32 v35, v55 offset:884
	v_pack_b32_f16 v54, v24, v51
	ds_write2_b32 v35, v53, v57 offset1:26
	ds_write2_b32 v35, v58, v28 offset0:52 offset1:78
	ds_write2_b32 v35, v54, v15 offset0:104 offset1:143
	ds_write_b32 v42, v56 offset:988
	s_and_saveexec_b64 s[2:3], s[0:1]
	s_cbranch_execz .LBB0_11
; %bb.10:
	s_mov_b32 s4, 0x5040100
	v_perm_b32 v15, v14, v26, s4
	v_perm_b32 v28, v52, v27, s4
	v_add_u32_e32 v53, 0x200, v35
	ds_write2_b32 v53, v15, v28 offset0:2 offset1:145
.LBB0_11:
	s_or_b64 exec, exec, s[2:3]
	s_waitcnt lgkmcnt(0)
	; wave barrier
	s_waitcnt lgkmcnt(0)
	s_and_saveexec_b64 s[2:3], vcc
	s_cbranch_execz .LBB0_13
; %bb.12:
	global_load_dword v15, v11, s[12:13] offset:1144
	s_add_u32 s4, s12, 0x478
	s_addc_u32 s5, s13, 0
	global_load_dword v28, v11, s[4:5] offset:88
	global_load_dword v53, v11, s[4:5] offset:176
	global_load_dword v66, v11, s[4:5] offset:264
	global_load_dword v67, v11, s[4:5] offset:352
	global_load_dword v68, v11, s[4:5] offset:440
	global_load_dword v69, v11, s[4:5] offset:528
	global_load_dword v70, v11, s[4:5] offset:616
	global_load_dword v71, v11, s[4:5] offset:704
	global_load_dword v72, v11, s[4:5] offset:792
	global_load_dword v73, v11, s[4:5] offset:880
	global_load_dword v74, v11, s[4:5] offset:968
	ds_read2_b32 v[54:55], v35 offset1:22
	ds_read2_b32 v[56:57], v35 offset0:44 offset1:66
	ds_read2_b32 v[58:59], v35 offset0:88 offset1:110
	;; [unrolled: 1-line block ×5, first 2 shown]
	global_load_dword v75, v11, s[4:5] offset:1056
	s_waitcnt lgkmcnt(5)
	v_lshrrev_b32_e32 v76, 16, v54
	v_lshrrev_b32_e32 v77, 16, v55
	s_waitcnt lgkmcnt(4)
	v_lshrrev_b32_e32 v78, 16, v56
	v_lshrrev_b32_e32 v79, 16, v57
	;; [unrolled: 3-line block ×5, first 2 shown]
	s_waitcnt vmcnt(9)
	v_mul_f16_sdwa v88, v79, v66 dst_sel:DWORD dst_unused:UNUSED_PAD src0_sel:DWORD src1_sel:WORD_1
	v_mul_f16_sdwa v89, v57, v66 dst_sel:DWORD dst_unused:UNUSED_PAD src0_sel:DWORD src1_sel:WORD_1
	s_waitcnt vmcnt(8)
	v_mul_f16_sdwa v90, v80, v67 dst_sel:DWORD dst_unused:UNUSED_PAD src0_sel:DWORD src1_sel:WORD_1
	v_mul_f16_sdwa v91, v58, v67 dst_sel:DWORD dst_unused:UNUSED_PAD src0_sel:DWORD src1_sel:WORD_1
	;; [unrolled: 3-line block ×3, first 2 shown]
	v_mul_f16_sdwa v87, v54, v15 dst_sel:DWORD dst_unused:UNUSED_PAD src0_sel:DWORD src1_sel:WORD_1
	v_fma_f16 v54, v54, v15, -v86
	v_fma_f16 v15, v76, v15, v87
	v_pack_b32_f16 v15, v54, v15
	v_mul_f16_sdwa v54, v77, v28 dst_sel:DWORD dst_unused:UNUSED_PAD src0_sel:DWORD src1_sel:WORD_1
	v_mul_f16_sdwa v76, v55, v28 dst_sel:DWORD dst_unused:UNUSED_PAD src0_sel:DWORD src1_sel:WORD_1
	;; [unrolled: 1-line block ×5, first 2 shown]
	s_waitcnt vmcnt(6)
	v_mul_f16_sdwa v94, v82, v69 dst_sel:DWORD dst_unused:UNUSED_PAD src0_sel:DWORD src1_sel:WORD_1
	v_mul_f16_sdwa v95, v60, v69 dst_sel:DWORD dst_unused:UNUSED_PAD src0_sel:DWORD src1_sel:WORD_1
	s_waitcnt vmcnt(5)
	v_mul_f16_sdwa v96, v83, v70 dst_sel:DWORD dst_unused:UNUSED_PAD src0_sel:DWORD src1_sel:WORD_1
	v_mul_f16_sdwa v97, v61, v70 dst_sel:DWORD dst_unused:UNUSED_PAD src0_sel:DWORD src1_sel:WORD_1
	;; [unrolled: 3-line block ×4, first 2 shown]
	v_fma_f16 v54, v55, v28, -v54
	v_fma_f16 v28, v77, v28, v76
	v_fma_f16 v55, v56, v53, -v86
	v_fma_f16 v53, v78, v53, v87
	;; [unrolled: 2-line block ×9, first 2 shown]
	v_pack_b32_f16 v28, v54, v28
	v_pack_b32_f16 v53, v55, v53
	;; [unrolled: 1-line block ×9, first 2 shown]
	ds_write2_b32 v35, v15, v28 offset1:22
	ds_write2_b32 v35, v53, v54 offset0:44 offset1:66
	ds_write2_b32 v35, v55, v56 offset0:88 offset1:110
	;; [unrolled: 1-line block ×4, first 2 shown]
	s_waitcnt lgkmcnt(5)
	v_lshrrev_b32_e32 v15, 16, v64
	s_waitcnt vmcnt(2)
	v_mul_f16_sdwa v28, v15, v73 dst_sel:DWORD dst_unused:UNUSED_PAD src0_sel:DWORD src1_sel:WORD_1
	v_mul_f16_sdwa v53, v64, v73 dst_sel:DWORD dst_unused:UNUSED_PAD src0_sel:DWORD src1_sel:WORD_1
	v_fma_f16 v28, v64, v73, -v28
	v_fma_f16 v15, v15, v73, v53
	ds_read_b32 v54, v35 offset:1056
	v_pack_b32_f16 v15, v28, v15
	v_lshrrev_b32_e32 v28, 16, v65
	s_waitcnt vmcnt(1)
	v_mul_f16_sdwa v53, v28, v74 dst_sel:DWORD dst_unused:UNUSED_PAD src0_sel:DWORD src1_sel:WORD_1
	v_mul_f16_sdwa v55, v65, v74 dst_sel:DWORD dst_unused:UNUSED_PAD src0_sel:DWORD src1_sel:WORD_1
	v_fma_f16 v53, v65, v74, -v53
	v_fma_f16 v28, v28, v74, v55
	v_pack_b32_f16 v28, v53, v28
	ds_write2_b32 v35, v15, v28 offset0:220 offset1:242
	s_waitcnt lgkmcnt(1)
	v_lshrrev_b32_e32 v15, 16, v54
	s_waitcnt vmcnt(0)
	v_mul_f16_sdwa v28, v15, v75 dst_sel:DWORD dst_unused:UNUSED_PAD src0_sel:DWORD src1_sel:WORD_1
	v_mul_f16_sdwa v53, v54, v75 dst_sel:DWORD dst_unused:UNUSED_PAD src0_sel:DWORD src1_sel:WORD_1
	v_fma_f16 v28, v54, v75, -v28
	v_fma_f16 v15, v15, v75, v53
	v_pack_b32_f16 v15, v28, v15
	ds_write_b32 v35, v15 offset:1056
.LBB0_13:
	s_or_b64 exec, exec, s[2:3]
	s_waitcnt lgkmcnt(0)
	; wave barrier
	s_waitcnt lgkmcnt(0)
	s_and_saveexec_b64 s[2:3], vcc
	s_cbranch_execz .LBB0_15
; %bb.14:
	ds_read2_b32 v[16:17], v35 offset1:22
	ds_read2_b32 v[18:19], v35 offset0:44 offset1:66
	ds_read2_b32 v[20:21], v35 offset0:88 offset1:110
	ds_read2_b32 v[22:23], v35 offset0:132 offset1:154
	ds_read2_b32 v[24:25], v35 offset0:176 offset1:198
	ds_read2_b32 v[26:27], v35 offset0:220 offset1:242
	ds_read_b32 v34, v35 offset:1056
	s_waitcnt lgkmcnt(6)
	v_lshrrev_b32_e32 v43, 16, v16
	v_lshrrev_b32_e32 v44, 16, v17
	s_waitcnt lgkmcnt(5)
	v_lshrrev_b32_e32 v47, 16, v18
	v_lshrrev_b32_e32 v45, 16, v19
	s_waitcnt lgkmcnt(4)
	v_lshrrev_b32_e32 v48, 16, v20
	v_lshrrev_b32_e32 v46, 16, v21
	s_waitcnt lgkmcnt(3)
	v_lshrrev_b32_e32 v29, 16, v22
	v_lshrrev_b32_e32 v49, 16, v23
	s_waitcnt lgkmcnt(2)
	v_lshrrev_b32_e32 v51, 16, v24
	v_lshrrev_b32_e32 v50, 16, v25
	s_waitcnt lgkmcnt(1)
	v_lshrrev_b32_e32 v14, 16, v26
	v_lshrrev_b32_e32 v52, 16, v27
	s_waitcnt lgkmcnt(0)
	v_lshrrev_b32_e32 v33, 16, v34
.LBB0_15:
	s_or_b64 exec, exec, s[2:3]
	v_sub_f16_e32 v64, v44, v33
	v_add_f16_e32 v53, v34, v17
	v_add_f16_e32 v67, v33, v44
	s_movk_i32 s4, 0x388b
	v_mul_f16_e32 v71, 0xba95, v64
	v_sub_f16_e32 v66, v47, v52
	v_sub_f16_e32 v55, v17, v34
	s_mov_b32 s6, 0xba95
	v_mul_f16_e32 v77, 0x388b, v67
	v_fma_f16 v15, v53, s4, -v71
	v_add_f16_e32 v54, v27, v18
	v_add_f16_e32 v69, v52, v47
	s_mov_b32 s5, 0xb5ac
	v_mul_f16_e32 v74, 0xbb7b, v66
	v_add_f16_e32 v15, v16, v15
	v_fma_f16 v28, v55, s6, v77
	v_sub_f16_e32 v57, v18, v27
	s_mov_b32 s16, 0xbb7b
	v_mul_f16_e32 v80, 0xb5ac, v69
	v_fma_f16 v56, v54, s5, -v74
	v_add_f16_e32 v28, v43, v28
	v_add_f16_e32 v15, v56, v15
	v_fma_f16 v56, v57, s16, v80
	v_sub_f16_e32 v68, v45, v14
	v_add_f16_e32 v28, v56, v28
	v_add_f16_e32 v56, v26, v19
	;; [unrolled: 1-line block ×3, first 2 shown]
	s_mov_b32 s7, 0xbbc4
	v_mul_f16_e32 v79, 0xb3a8, v68
	v_sub_f16_e32 v59, v19, v26
	s_mov_b32 s17, 0xb3a8
	v_mul_f16_e32 v83, 0xbbc4, v72
	v_fma_f16 v58, v56, s7, -v79
	v_add_f16_e32 v15, v58, v15
	v_fma_f16 v58, v59, s17, v83
	v_sub_f16_e32 v70, v48, v50
	v_add_f16_e32 v28, v58, v28
	v_add_f16_e32 v58, v25, v20
	;; [unrolled: 1-line block ×3, first 2 shown]
	s_mov_b32 s18, 0xb9fd
	v_mul_f16_e32 v82, 0x394e, v70
	v_sub_f16_e32 v61, v20, v25
	s_movk_i32 s21, 0x394e
	v_mul_f16_e32 v85, 0xb9fd, v75
	v_fma_f16 v60, v58, s18, -v82
	v_add_f16_e32 v15, v60, v15
	v_fma_f16 v60, v61, s21, v85
	v_sub_f16_e32 v73, v46, v51
	v_add_f16_e32 v28, v60, v28
	v_add_f16_e32 v60, v24, v21
	v_add_f16_e32 v78, v51, v46
	s_movk_i32 s19, 0x2fb7
	v_mul_f16_e32 v84, 0x3bf1, v73
	v_sub_f16_e32 v63, v21, v24
	s_movk_i32 s24, 0x3bf1
	v_mul_f16_e32 v87, 0x2fb7, v78
	v_fma_f16 v62, v60, s19, -v84
	v_add_f16_e32 v15, v62, v15
	v_fma_f16 v62, v63, s24, v87
	v_sub_f16_e32 v76, v29, v49
	v_add_f16_e32 v28, v62, v28
	v_add_f16_e32 v62, v23, v22
	;; [unrolled: 1-line block ×3, first 2 shown]
	s_movk_i32 s20, 0x3b15
	v_mul_f16_e32 v86, 0x3770, v76
	v_sub_f16_e32 v65, v22, v23
	s_movk_i32 s25, 0x3770
	v_mul_f16_e32 v88, 0x3b15, v81
	v_fma_f16 v89, v62, s20, -v86
	v_add_f16_e32 v15, v89, v15
	v_fma_f16 v89, v65, s25, v88
	v_add_f16_e32 v28, v89, v28
	s_waitcnt lgkmcnt(0)
	; wave barrier
	s_and_saveexec_b64 s[2:3], vcc
	s_cbranch_execz .LBB0_17
; %bb.16:
	v_mul_f16_e32 v101, 0xbbf1, v55
	v_fma_f16 v102, v67, s19, v101
	v_mul_f16_e32 v103, 0xb3a8, v57
	v_add_f16_e32 v102, v43, v102
	v_fma_f16 v104, v69, s7, v103
	v_add_f16_e32 v102, v104, v102
	v_mul_f16_e32 v104, 0x3b7b, v59
	v_fma_f16 v105, v72, s5, v104
	v_add_f16_e32 v102, v105, v102
	v_mul_f16_e32 v105, 0x3770, v61
	;; [unrolled: 3-line block ×5, first 2 shown]
	v_fma_f16 v109, v53, s19, -v108
	v_mul_f16_e32 v110, 0xb3a8, v66
	v_add_f16_e32 v109, v16, v109
	v_fma_f16 v111, v54, s7, -v110
	v_add_f16_e32 v109, v111, v109
	v_mul_f16_e32 v111, 0x3b7b, v68
	v_fma_f16 v112, v56, s5, -v111
	v_add_f16_e32 v109, v112, v109
	v_mul_f16_e32 v112, 0x3770, v70
	;; [unrolled: 3-line block ×5, first 2 shown]
	v_fma_f16 v116, v67, s5, v115
	v_mul_f16_e32 v117, 0x394e, v57
	v_add_f16_e32 v116, v43, v116
	v_fma_f16 v118, v69, s18, v117
	v_add_f16_e32 v116, v118, v116
	v_mul_f16_e32 v118, 0x3770, v59
	v_fma_f16 v119, v72, s20, v118
	v_add_f16_e32 v116, v119, v116
	v_mul_f16_e32 v119, 0xbbf1, v61
	;; [unrolled: 3-line block ×5, first 2 shown]
	v_fma_f16 v123, v53, s5, -v122
	v_mul_f16_e32 v124, 0x394e, v66
	v_add_f16_e32 v123, v16, v123
	v_fma_f16 v125, v54, s18, -v124
	v_add_f16_e32 v123, v125, v123
	v_mul_f16_e32 v125, 0x3770, v68
	v_fma_f16 v126, v56, s20, -v125
	v_add_f16_e32 v123, v126, v123
	v_mul_f16_e32 v126, 0xbbf1, v70
	;; [unrolled: 3-line block ×5, first 2 shown]
	v_fma_f16 v130, v67, s18, v129
	v_mul_f16_e32 v131, 0x3bf1, v57
	v_add_f16_e32 v130, v43, v130
	v_fma_f16 v132, v69, s19, v131
	v_add_f16_e32 v130, v132, v130
	v_mul_f16_e32 v132, 0xba95, v59
	v_fma_f16 v133, v72, s4, v132
	v_add_f16_e32 v130, v133, v130
	v_mul_f16_e32 v133, 0x33a8, v61
	;; [unrolled: 3-line block ×5, first 2 shown]
	v_fma_f16 v137, v53, s18, -v136
	v_mul_f16_e32 v138, 0x3bf1, v66
	v_add_f16_e32 v137, v16, v137
	v_fma_f16 v139, v54, s19, -v138
	v_add_f16_e32 v137, v139, v137
	v_mul_f16_e32 v139, 0xba95, v68
	v_fma_f16 v140, v56, s4, -v139
	v_add_f16_e32 v137, v140, v137
	v_mul_f16_e32 v140, 0x33a8, v70
	;; [unrolled: 3-line block ×3, first 2 shown]
	v_fma_f16 v142, v60, s20, -v141
	v_mul_f16_e32 v89, 0x388b, v53
	v_add_f16_e32 v137, v142, v137
	v_mul_f16_e32 v142, 0xbb7b, v76
	v_mul_f16_e32 v91, 0xb5ac, v54
	v_fma_f16 v143, v62, s5, -v142
	v_add_f16_e32 v71, v89, v71
	v_mul_f16_e32 v93, 0xbbc4, v56
	v_add_f16_e32 v137, v143, v137
	v_mul_f16_e32 v143, 0xb3a8, v55
	v_add_f16_e32 v71, v16, v71
	v_add_f16_e32 v74, v91, v74
	;; [unrolled: 1-line block ×3, first 2 shown]
	v_mul_f16_e32 v95, 0xb9fd, v58
	v_fma_f16 v144, v67, s7, v143
	v_mul_f16_e32 v145, 0x3770, v57
	v_add_f16_e32 v71, v74, v71
	v_add_f16_e32 v74, v93, v79
	;; [unrolled: 1-line block ×4, first 2 shown]
	v_mul_f16_e32 v97, 0x2fb7, v60
	v_add_f16_e32 v144, v43, v144
	v_fma_f16 v146, v69, s20, v145
	v_add_f16_e32 v71, v74, v71
	v_add_f16_e32 v74, v95, v82
	;; [unrolled: 1-line block ×3, first 2 shown]
	v_mul_f16_e32 v99, 0x3b15, v62
	v_add_f16_e32 v144, v146, v144
	v_mul_f16_e32 v146, 0xb94e, v59
	v_add_f16_e32 v71, v74, v71
	v_add_f16_e32 v74, v97, v84
	;; [unrolled: 1-line block ×3, first 2 shown]
	v_fma_f16 v147, v72, s18, v146
	v_fma_f16 v143, v67, s7, -v143
	v_fma_f16 v129, v67, s18, -v129
	;; [unrolled: 1-line block ×4, first 2 shown]
	v_add_f16_e32 v71, v74, v71
	v_add_f16_e32 v74, v99, v86
	v_mul_f16_e32 v67, 0x3b15, v67
	v_add_f16_e32 v18, v48, v18
	s_movk_i32 s28, 0x3a95
	v_add_f16_e32 v144, v147, v144
	v_mul_f16_e32 v147, 0x3a95, v61
	v_add_f16_e32 v143, v43, v143
	v_fma_f16 v145, v69, s20, -v145
	v_add_f16_e32 v129, v43, v129
	v_fma_f16 v131, v69, s19, -v131
	v_add_f16_e32 v115, v43, v115
	v_fma_f16 v117, v69, s18, -v117
	v_add_f16_e32 v101, v43, v101
	v_fma_f16 v103, v69, s7, -v103
	v_add_f16_e32 v71, v74, v71
	v_fma_f16 v74, v55, s25, v67
	v_mul_f16_e32 v69, 0x388b, v69
	v_add_f16_e32 v18, v46, v18
	v_fma_f16 v148, v75, s4, v147
	v_add_f16_e32 v143, v145, v143
	v_fma_f16 v145, v72, s18, -v146
	v_add_f16_e32 v129, v131, v129
	v_fma_f16 v131, v72, s4, -v132
	;; [unrolled: 2-line block ×4, first 2 shown]
	v_add_f16_e32 v74, v43, v74
	v_fma_f16 v79, v57, s28, v69
	v_mul_f16_e32 v72, 0x2fb7, v72
	v_add_f16_e32 v18, v29, v18
	s_movk_i32 s26, 0x3b7b
	v_add_f16_e32 v144, v148, v144
	v_mul_f16_e32 v148, 0xbb7b, v63
	v_add_f16_e32 v143, v145, v143
	v_fma_f16 v145, v75, s4, -v147
	v_add_f16_e32 v129, v131, v129
	v_fma_f16 v131, v75, s7, -v133
	;; [unrolled: 2-line block ×4, first 2 shown]
	v_add_f16_e32 v74, v79, v74
	v_fma_f16 v79, v59, s24, v72
	v_mul_f16_e32 v75, 0xb5ac, v75
	v_add_f16_e32 v18, v49, v18
	v_mul_f16_e32 v90, 0xba95, v55
	v_fma_f16 v149, v78, s5, v148
	v_add_f16_e32 v143, v145, v143
	v_fma_f16 v145, v78, s5, -v148
	v_add_f16_e32 v129, v131, v129
	v_fma_f16 v131, v78, s20, -v134
	;; [unrolled: 2-line block ×4, first 2 shown]
	v_add_f16_e32 v74, v79, v74
	v_fma_f16 v79, v61, s26, v75
	v_mul_f16_e32 v78, 0xb9fd, v78
	v_add_f16_e32 v18, v51, v18
	v_mul_f16_e32 v92, 0xbb7b, v57
	v_add_f16_e32 v144, v149, v144
	v_mul_f16_e32 v149, 0x3bf1, v65
	v_sub_f16_e32 v77, v77, v90
	v_add_f16_e32 v74, v79, v74
	v_fma_f16 v79, v63, s21, v78
	s_mov_b32 s21, 0xb770
	v_add_f16_e32 v18, v50, v18
	v_mul_f16_e32 v94, 0xb3a8, v59
	v_fma_f16 v150, v81, s19, v149
	v_add_f16_e32 v77, v43, v77
	v_sub_f16_e32 v80, v80, v92
	v_add_f16_e32 v14, v14, v18
	v_fma_f16 v18, v55, s21, v67
	v_mul_f16_e32 v96, 0x394e, v61
	s_mov_b32 s22, 0xbbf1
	v_add_f16_e32 v144, v150, v144
	v_mul_f16_e32 v150, 0xb3a8, v64
	v_add_f16_e32 v77, v80, v77
	v_sub_f16_e32 v80, v83, v94
	v_add_f16_e32 v17, v19, v17
	v_add_f16_e32 v18, v43, v18
	v_fma_f16 v19, v57, s6, v69
	v_mul_f16_e32 v98, 0x3bf1, v63
	v_fma_f16 v151, v53, s7, -v150
	v_mul_f16_e32 v152, 0x3770, v66
	v_add_f16_e32 v77, v80, v77
	v_sub_f16_e32 v80, v85, v96
	v_add_f16_e32 v18, v19, v18
	v_fma_f16 v19, v59, s22, v72
	v_mul_f16_e32 v100, 0x3770, v65
	s_mov_b32 s23, 0xb94e
	v_add_f16_e32 v151, v16, v151
	v_fma_f16 v153, v54, s20, -v152
	v_add_f16_e32 v77, v80, v77
	v_sub_f16_e32 v80, v87, v98
	v_add_f16_e32 v18, v19, v18
	v_fma_f16 v19, v61, s16, v75
	s_movk_i32 s27, 0x33a8
	v_add_f16_e32 v151, v153, v151
	v_mul_f16_e32 v153, 0xb94e, v68
	v_add_f16_e32 v77, v80, v77
	v_sub_f16_e32 v80, v88, v100
	v_add_f16_e32 v74, v79, v74
	v_mul_f16_e32 v79, 0xbbc4, v81
	v_add_f16_e32 v17, v20, v17
	v_add_f16_e32 v18, v19, v18
	v_fma_f16 v19, v63, s23, v78
	v_fma_f16 v154, v56, s18, -v153
	v_add_f16_e32 v143, v145, v143
	v_fma_f16 v145, v81, s19, -v149
	v_add_f16_e32 v129, v131, v129
	v_fma_f16 v131, v81, s5, -v135
	v_add_f16_e32 v115, v117, v115
	v_fma_f16 v117, v81, s4, -v121
	v_add_f16_e32 v101, v103, v101
	v_fma_f16 v103, v81, s18, -v107
	v_add_f16_e32 v77, v80, v77
	v_fma_f16 v80, v65, s27, v79
	v_mul_f16_e32 v64, 0xb770, v64
	v_add_f16_e32 v17, v21, v17
	v_add_f16_e32 v18, v19, v18
	v_fma_f16 v19, v65, s17, v79
	v_add_f16_e32 v151, v154, v151
	v_mul_f16_e32 v154, 0x3a95, v70
	v_add_f16_e32 v143, v145, v143
	v_fma_f16 v145, v53, s7, v150
	v_add_f16_e32 v129, v131, v129
	v_fma_f16 v131, v53, s18, v136
	;; [unrolled: 2-line block ×5, first 2 shown]
	v_mul_f16_e32 v66, 0xba95, v66
	v_add_f16_e32 v17, v22, v17
	v_add_f16_e32 v18, v19, v18
	v_fma_f16 v19, v53, s20, -v64
	v_fma_f16 v155, v58, s4, -v154
	v_add_f16_e32 v145, v16, v145
	v_add_f16_e32 v131, v16, v131
	v_add_f16_e32 v117, v16, v117
	v_add_f16_e32 v103, v16, v103
	v_add_f16_e32 v80, v16, v80
	v_fma_f16 v81, v54, s4, v66
	v_mul_f16_e32 v68, 0xbbf1, v68
	v_add_f16_e32 v17, v23, v17
	v_add_f16_e32 v16, v16, v19
	v_fma_f16 v19, v54, s4, -v66
	v_add_f16_e32 v151, v155, v151
	v_mul_f16_e32 v155, 0xbb7b, v73
	v_fma_f16 v104, v54, s7, v110
	v_add_f16_e32 v80, v81, v80
	v_fma_f16 v81, v56, s19, v68
	v_mul_f16_e32 v70, 0xbb7b, v70
	v_add_f16_e32 v17, v24, v17
	v_add_f16_e32 v16, v19, v16
	v_fma_f16 v19, v56, s19, -v68
	v_fma_f16 v156, v60, s5, -v155
	v_fma_f16 v132, v54, s19, v138
	v_fma_f16 v118, v54, s18, v124
	v_add_f16_e32 v103, v104, v103
	v_fma_f16 v104, v56, s5, v111
	v_add_f16_e32 v80, v81, v80
	v_fma_f16 v81, v58, s5, v70
	v_mul_f16_e32 v73, 0xb94e, v73
	v_add_f16_e32 v17, v25, v17
	v_add_f16_e32 v16, v19, v16
	v_fma_f16 v19, v58, s5, -v70
	v_add_f16_e32 v151, v156, v151
	v_mul_f16_e32 v156, 0x3bf1, v76
	v_fma_f16 v146, v54, s20, v152
	v_add_f16_e32 v131, v132, v131
	v_fma_f16 v132, v56, s4, v139
	v_add_f16_e32 v117, v118, v117
	;; [unrolled: 2-line block ×4, first 2 shown]
	v_fma_f16 v81, v60, s18, v73
	v_mul_f16_e32 v76, 0xb3a8, v76
	v_add_f16_e32 v17, v26, v17
	v_add_f16_e32 v16, v19, v16
	v_fma_f16 v19, v60, s18, -v73
	v_add_f16_e32 v145, v146, v145
	v_fma_f16 v146, v56, s18, v153
	v_add_f16_e32 v131, v132, v131
	v_fma_f16 v132, v58, s7, v140
	;; [unrolled: 2-line block ×5, first 2 shown]
	v_add_f16_e32 v17, v27, v17
	v_add_f16_e32 v14, v52, v14
	;; [unrolled: 1-line block ×3, first 2 shown]
	v_fma_f16 v19, v62, s7, -v76
	v_add_f16_e32 v145, v146, v145
	v_fma_f16 v146, v58, s4, v154
	v_add_f16_e32 v131, v132, v131
	v_fma_f16 v132, v60, s20, v141
	;; [unrolled: 2-line block ×4, first 2 shown]
	v_add_f16_e32 v80, v81, v80
	v_add_f16_e32 v17, v34, v17
	;; [unrolled: 1-line block ×4, first 2 shown]
	v_mul_lo_u16_e32 v19, 13, v8
	v_add_f16_e32 v145, v146, v145
	v_fma_f16 v146, v60, s5, v155
	v_add_f16_e32 v131, v132, v131
	v_fma_f16 v132, v62, s5, v142
	;; [unrolled: 2-line block ×3, first 2 shown]
	v_add_f16_e32 v103, v104, v103
	v_lshl_add_u32 v19, v19, 2, v31
	v_pack_b32_f16 v20, v80, v74
	v_pack_b32_f16 v14, v17, v14
	v_fma_f16 v157, v62, s19, -v156
	v_add_f16_e32 v145, v146, v145
	v_fma_f16 v146, v62, s19, v156
	v_add_f16_e32 v131, v132, v131
	v_add_f16_e32 v117, v118, v117
	ds_write2_b32 v19, v14, v20 offset1:1
	v_pack_b32_f16 v14, v71, v77
	v_pack_b32_f16 v17, v103, v101
	v_add_f16_e32 v151, v157, v151
	v_add_f16_e32 v145, v146, v145
	ds_write2_b32 v19, v14, v17 offset0:2 offset1:3
	v_pack_b32_f16 v14, v131, v129
	v_pack_b32_f16 v17, v117, v115
	ds_write2_b32 v19, v17, v14 offset0:4 offset1:5
	v_pack_b32_f16 v14, v151, v144
	v_pack_b32_f16 v17, v145, v143
	;; [unrolled: 3-line block ×3, first 2 shown]
	s_mov_b32 s4, 0x5040100
	ds_write2_b32 v19, v17, v14 offset0:8 offset1:9
	v_pack_b32_f16 v14, v109, v102
	v_perm_b32 v17, v28, v15, s4
	ds_write2_b32 v19, v14, v17 offset0:10 offset1:11
	v_pack_b32_f16 v14, v16, v18
	ds_write_b32 v19, v14 offset:48
.LBB0_17:
	s_or_b64 exec, exec, s[2:3]
	s_waitcnt lgkmcnt(0)
	; wave barrier
	s_waitcnt lgkmcnt(0)
	ds_read2_b32 v[16:17], v32 offset1:26
	ds_read2_b32 v[18:19], v32 offset0:52 offset1:78
	ds_read2_b32 v[20:21], v32 offset0:104 offset1:130
	;; [unrolled: 1-line block ×4, first 2 shown]
	s_waitcnt lgkmcnt(4)
	v_lshrrev_b32_e32 v14, 16, v17
	v_mul_f16_sdwa v47, v0, v14 dst_sel:DWORD dst_unused:UNUSED_PAD src0_sel:WORD_1 src1_sel:DWORD
	s_waitcnt lgkmcnt(3)
	v_lshrrev_b32_e32 v26, 16, v18
	v_fma_f16 v47, v0, v17, v47
	v_mul_f16_sdwa v17, v0, v17 dst_sel:DWORD dst_unused:UNUSED_PAD src0_sel:WORD_1 src1_sel:DWORD
	v_lshrrev_b32_e32 v27, 16, v19
	v_fma_f16 v0, v0, v14, -v17
	v_mul_f16_sdwa v14, v1, v26 dst_sel:DWORD dst_unused:UNUSED_PAD src0_sel:WORD_1 src1_sel:DWORD
	v_mul_f16_sdwa v17, v1, v18 dst_sel:DWORD dst_unused:UNUSED_PAD src0_sel:WORD_1 src1_sel:DWORD
	s_waitcnt lgkmcnt(2)
	v_lshrrev_b32_e32 v29, 16, v20
	v_fma_f16 v14, v1, v18, v14
	v_fma_f16 v1, v1, v26, -v17
	v_mul_f16_sdwa v17, v2, v27 dst_sel:DWORD dst_unused:UNUSED_PAD src0_sel:WORD_1 src1_sel:DWORD
	v_mul_f16_sdwa v18, v2, v19 dst_sel:DWORD dst_unused:UNUSED_PAD src0_sel:WORD_1 src1_sel:DWORD
	v_lshrrev_b32_e32 v31, 16, v21
	ds_read_b32 v33, v32 offset:1040
	v_fma_f16 v17, v2, v19, v17
	v_fma_f16 v2, v2, v27, -v18
	v_mul_f16_sdwa v18, v3, v29 dst_sel:DWORD dst_unused:UNUSED_PAD src0_sel:WORD_1 src1_sel:DWORD
	v_mul_f16_sdwa v19, v3, v20 dst_sel:DWORD dst_unused:UNUSED_PAD src0_sel:WORD_1 src1_sel:DWORD
	s_waitcnt lgkmcnt(2)
	v_lshrrev_b32_e32 v34, 16, v22
	v_fma_f16 v18, v3, v20, v18
	v_fma_f16 v3, v3, v29, -v19
	v_mul_f16_sdwa v19, v4, v31 dst_sel:DWORD dst_unused:UNUSED_PAD src0_sel:WORD_1 src1_sel:DWORD
	v_mul_f16_sdwa v20, v4, v21 dst_sel:DWORD dst_unused:UNUSED_PAD src0_sel:WORD_1 src1_sel:DWORD
	v_lshrrev_b32_e32 v43, 16, v23
	v_fma_f16 v19, v4, v21, v19
	v_fma_f16 v4, v4, v31, -v20
	v_mul_f16_sdwa v20, v5, v34 dst_sel:DWORD dst_unused:UNUSED_PAD src0_sel:WORD_1 src1_sel:DWORD
	v_mul_f16_sdwa v21, v5, v22 dst_sel:DWORD dst_unused:UNUSED_PAD src0_sel:WORD_1 src1_sel:DWORD
	s_waitcnt lgkmcnt(1)
	v_lshrrev_b32_e32 v44, 16, v24
	v_fma_f16 v20, v5, v22, v20
	v_fma_f16 v5, v5, v34, -v21
	v_mul_f16_sdwa v21, v6, v43 dst_sel:DWORD dst_unused:UNUSED_PAD src0_sel:WORD_1 src1_sel:DWORD
	v_mul_f16_sdwa v22, v6, v23 dst_sel:DWORD dst_unused:UNUSED_PAD src0_sel:WORD_1 src1_sel:DWORD
	v_lshrrev_b32_e32 v45, 16, v25
	v_fma_f16 v21, v6, v23, v21
	v_fma_f16 v6, v6, v43, -v22
	v_mul_f16_sdwa v22, v7, v44 dst_sel:DWORD dst_unused:UNUSED_PAD src0_sel:WORD_1 src1_sel:DWORD
	v_mul_f16_sdwa v23, v7, v24 dst_sel:DWORD dst_unused:UNUSED_PAD src0_sel:WORD_1 src1_sel:DWORD
	s_waitcnt lgkmcnt(0)
	v_lshrrev_b32_e32 v46, 16, v33
	v_fma_f16 v22, v7, v24, v22
	v_fma_f16 v7, v7, v44, -v23
	v_mul_f16_sdwa v23, v12, v45 dst_sel:DWORD dst_unused:UNUSED_PAD src0_sel:WORD_1 src1_sel:DWORD
	v_mul_f16_sdwa v24, v12, v25 dst_sel:DWORD dst_unused:UNUSED_PAD src0_sel:WORD_1 src1_sel:DWORD
	v_fma_f16 v23, v12, v25, v23
	v_fma_f16 v12, v12, v45, -v24
	v_mul_f16_sdwa v24, v13, v46 dst_sel:DWORD dst_unused:UNUSED_PAD src0_sel:WORD_1 src1_sel:DWORD
	v_mul_f16_sdwa v25, v13, v33 dst_sel:DWORD dst_unused:UNUSED_PAD src0_sel:WORD_1 src1_sel:DWORD
	v_fma_f16 v24, v13, v33, v24
	v_fma_f16 v13, v13, v46, -v25
	v_add_f16_e32 v25, v16, v47
	v_add_f16_sdwa v26, v16, v0 dst_sel:DWORD dst_unused:UNUSED_PAD src0_sel:WORD_1 src1_sel:DWORD
	v_add_f16_e32 v25, v25, v14
	v_add_f16_e32 v26, v26, v1
	;; [unrolled: 1-line block ×17, first 2 shown]
	v_sub_f16_e32 v0, v0, v13
	v_add_f16_e32 v25, v25, v24
	v_add_f16_e32 v26, v26, v13
	;; [unrolled: 1-line block ×3, first 2 shown]
	v_sub_f16_e32 v24, v47, v24
	s_mov_b32 s7, 0xb853
	v_mul_f16_e32 v13, 0xb853, v0
	s_movk_i32 s16, 0x3abb
	v_mul_f16_e32 v33, 0x3abb, v29
	s_movk_i32 s17, 0x3853
	s_mov_b32 s3, 0xbb47
	v_mul_f16_e32 v43, 0xbb47, v0
	s_movk_i32 s4, 0x36a6
	v_mul_f16_e32 v45, 0x36a6, v29
	s_movk_i32 s5, 0x3b47
	s_mov_b32 s2, 0xbbeb
	v_mul_f16_e32 v47, 0xbbeb, v0
	s_mov_b32 s6, 0xb08e
	v_mul_f16_e32 v49, 0xb08e, v29
	s_movk_i32 s18, 0x3beb
	s_mov_b32 s19, 0xba0c
	v_mul_f16_e32 v51, 0xba0c, v0
	s_mov_b32 s20, 0xb93d
	;; [unrolled: 5-line block ×3, first 2 shown]
	v_mul_f16_e32 v29, 0xbbad, v29
	s_movk_i32 s24, 0x3482
	v_fma_f16 v31, v27, s16, v13
	v_fma_f16 v34, v24, s17, v33
	v_fma_f16 v13, v27, s16, -v13
	v_fma_f16 v33, v24, s7, v33
	v_fma_f16 v44, v27, s4, v43
	v_fma_f16 v46, v24, s5, v45
	v_fma_f16 v43, v27, s4, -v43
	v_fma_f16 v45, v24, s3, v45
	;; [unrolled: 4-line block ×5, first 2 shown]
	v_add_f16_e32 v27, v1, v12
	v_sub_f16_e32 v1, v1, v12
	v_add_f16_e32 v31, v16, v31
	v_add_f16_sdwa v34, v16, v34 dst_sel:DWORD dst_unused:UNUSED_PAD src0_sel:WORD_1 src1_sel:DWORD
	v_add_f16_e32 v13, v16, v13
	v_add_f16_sdwa v33, v16, v33 dst_sel:DWORD dst_unused:UNUSED_PAD src0_sel:WORD_1 src1_sel:DWORD
	;; [unrolled: 2-line block ×10, first 2 shown]
	v_add_f16_e32 v24, v14, v23
	v_mul_f16_e32 v12, 0xbb47, v1
	v_sub_f16_e32 v14, v14, v23
	v_fma_f16 v23, v24, s4, v12
	v_mul_f16_e32 v29, 0x36a6, v27
	v_fma_f16 v12, v24, s4, -v12
	v_add_f16_e32 v23, v23, v31
	v_fma_f16 v31, v14, s5, v29
	v_add_f16_e32 v12, v12, v13
	v_fma_f16 v13, v14, s3, v29
	v_mul_f16_e32 v29, 0xba0c, v1
	v_add_f16_e32 v31, v31, v34
	v_add_f16_e32 v13, v13, v33
	v_fma_f16 v33, v24, s20, v29
	v_mul_f16_e32 v34, 0xb93d, v27
	v_fma_f16 v29, v24, s20, -v29
	v_add_f16_e32 v33, v33, v44
	v_fma_f16 v44, v14, s21, v34
	v_add_f16_e32 v29, v29, v43
	v_fma_f16 v34, v14, s19, v34
	v_mul_f16_e32 v43, 0x3482, v1
	v_add_f16_e32 v44, v44, v46
	v_add_f16_e32 v34, v34, v45
	v_fma_f16 v45, v24, s23, v43
	v_mul_f16_e32 v46, 0xbbad, v27
	v_fma_f16 v43, v24, s23, -v43
	v_add_f16_e32 v45, v45, v48
	v_fma_f16 v48, v14, s22, v46
	v_add_f16_e32 v43, v43, v47
	v_fma_f16 v46, v14, s24, v46
	v_mul_f16_e32 v47, 0x3beb, v1
	v_add_f16_e32 v46, v46, v49
	v_fma_f16 v49, v24, s6, v47
	v_fma_f16 v47, v24, s6, -v47
	v_mul_f16_e32 v1, 0x3853, v1
	v_add_f16_e32 v48, v48, v50
	v_mul_f16_e32 v50, 0xb08e, v27
	v_add_f16_e32 v47, v47, v51
	v_fma_f16 v51, v24, s16, v1
	v_mul_f16_e32 v27, 0x3abb, v27
	v_fma_f16 v1, v24, s16, -v1
	v_add_f16_e32 v0, v1, v0
	v_fma_f16 v1, v14, s17, v27
	v_add_f16_e32 v49, v49, v52
	v_fma_f16 v52, v14, s2, v50
	v_fma_f16 v50, v14, s18, v50
	v_add_f16_e32 v1, v1, v16
	v_add_f16_e32 v16, v2, v7
	v_sub_f16_e32 v2, v2, v7
	v_add_f16_e32 v50, v50, v53
	v_fma_f16 v53, v14, s7, v27
	v_add_f16_e32 v14, v17, v22
	v_mul_f16_e32 v7, 0xbbeb, v2
	v_sub_f16_e32 v17, v17, v22
	v_fma_f16 v22, v14, s6, v7
	v_add_f16_e32 v22, v22, v23
	v_mul_f16_e32 v23, 0xb08e, v16
	v_fma_f16 v7, v14, s6, -v7
	v_add_f16_e32 v7, v7, v12
	v_fma_f16 v12, v17, s2, v23
	v_add_f16_e32 v12, v12, v13
	v_mul_f16_e32 v13, 0x3482, v2
	v_fma_f16 v24, v17, s18, v23
	v_fma_f16 v23, v14, s23, v13
	v_fma_f16 v13, v14, s23, -v13
	v_mul_f16_e32 v27, 0xbbad, v16
	v_add_f16_e32 v13, v13, v29
	v_mul_f16_e32 v29, 0x3b47, v2
	v_add_f16_e32 v24, v24, v31
	v_add_f16_e32 v23, v23, v33
	v_fma_f16 v31, v17, s22, v27
	v_fma_f16 v27, v17, s24, v27
	;; [unrolled: 1-line block ×3, first 2 shown]
	v_fma_f16 v29, v14, s4, -v29
	v_add_f16_e32 v27, v27, v34
	v_mul_f16_e32 v34, 0x36a6, v16
	v_add_f16_e32 v29, v29, v43
	v_mul_f16_e32 v43, 0xb853, v2
	v_add_f16_e32 v31, v31, v44
	v_add_f16_e32 v33, v33, v45
	v_fma_f16 v44, v17, s3, v34
	v_fma_f16 v34, v17, s5, v34
	;; [unrolled: 1-line block ×3, first 2 shown]
	v_fma_f16 v43, v14, s16, -v43
	v_mul_f16_e32 v2, 0xba0c, v2
	v_add_f16_e32 v34, v34, v46
	v_mul_f16_e32 v46, 0x3abb, v16
	v_add_f16_e32 v43, v43, v47
	v_fma_f16 v47, v14, s20, v2
	v_mul_f16_e32 v16, 0xb93d, v16
	v_fma_f16 v2, v14, s20, -v2
	v_add_f16_e32 v0, v2, v0
	v_fma_f16 v2, v17, s19, v16
	v_add_f16_e32 v14, v3, v6
	v_sub_f16_e32 v3, v3, v6
	v_add_f16_e32 v1, v2, v1
	v_add_f16_e32 v2, v18, v21
	v_mul_f16_e32 v6, 0xba0c, v3
	v_add_f16_e32 v44, v44, v48
	v_add_f16_e32 v45, v45, v49
	v_fma_f16 v48, v17, s17, v46
	v_fma_f16 v46, v17, s7, v46
	;; [unrolled: 1-line block ×3, first 2 shown]
	v_sub_f16_e32 v16, v18, v21
	v_fma_f16 v17, v2, s20, v6
	v_mul_f16_e32 v18, 0xb93d, v14
	v_fma_f16 v6, v2, s20, -v6
	v_add_f16_e32 v6, v6, v7
	v_fma_f16 v7, v16, s19, v18
	v_add_f16_e32 v7, v7, v12
	v_mul_f16_e32 v12, 0x3beb, v3
	v_add_f16_e32 v17, v17, v22
	v_fma_f16 v21, v16, s21, v18
	v_fma_f16 v18, v2, s6, v12
	v_mul_f16_e32 v22, 0xb08e, v14
	v_fma_f16 v12, v2, s6, -v12
	v_add_f16_e32 v18, v18, v23
	v_fma_f16 v23, v16, s2, v22
	v_add_f16_e32 v12, v12, v13
	v_fma_f16 v13, v16, s18, v22
	v_mul_f16_e32 v22, 0xb853, v3
	v_add_f16_e32 v21, v21, v24
	v_fma_f16 v24, v2, s16, v22
	v_fma_f16 v22, v2, s16, -v22
	v_add_f16_e32 v13, v13, v27
	v_mul_f16_e32 v27, 0x3abb, v14
	v_add_f16_e32 v22, v22, v29
	v_mul_f16_e32 v29, 0xb482, v3
	v_add_f16_e32 v23, v23, v31
	v_add_f16_e32 v24, v24, v33
	v_fma_f16 v31, v16, s17, v27
	v_fma_f16 v27, v16, s7, v27
	v_fma_f16 v33, v2, s23, v29
	v_fma_f16 v29, v2, s23, -v29
	v_mul_f16_e32 v3, 0x3b47, v3
	v_add_f16_e32 v27, v27, v34
	v_mul_f16_e32 v34, 0xbbad, v14
	v_add_f16_e32 v29, v29, v43
	v_fma_f16 v43, v2, s4, v3
	v_mul_f16_e32 v14, 0x36a6, v14
	v_fma_f16 v2, v2, s4, -v3
	v_add_f16_e32 v0, v2, v0
	v_fma_f16 v2, v16, s5, v14
	v_add_f16_e32 v3, v4, v5
	v_sub_f16_e32 v4, v4, v5
	v_add_f16_e32 v1, v2, v1
	v_add_f16_e32 v2, v19, v20
	v_mul_f16_e32 v5, 0xb482, v4
	v_add_f16_e32 v31, v31, v44
	v_add_f16_e32 v33, v33, v45
	v_fma_f16 v44, v16, s24, v34
	v_fma_f16 v34, v16, s22, v34
	;; [unrolled: 1-line block ×3, first 2 shown]
	v_sub_f16_e32 v19, v19, v20
	v_fma_f16 v14, v2, s23, v5
	v_mul_f16_e32 v16, 0xbbad, v3
	v_add_f16_e32 v17, v14, v17
	v_fma_f16 v14, v19, s24, v16
	v_fma_f16 v5, v2, s23, -v5
	v_add_f16_e32 v20, v14, v21
	v_add_f16_e32 v14, v5, v6
	v_fma_f16 v5, v19, s22, v16
	v_add_f16_e32 v16, v5, v7
	v_mul_f16_e32 v5, 0x3853, v4
	v_fma_f16 v6, v2, s16, v5
	v_mul_f16_e32 v7, 0x3abb, v3
	v_fma_f16 v5, v2, s16, -v5
	v_add_f16_e32 v6, v6, v18
	v_fma_f16 v18, v19, s7, v7
	v_add_f16_e32 v5, v5, v12
	v_fma_f16 v7, v19, s17, v7
	v_mul_f16_e32 v12, 0xba0c, v4
	v_add_f16_e32 v7, v7, v13
	v_fma_f16 v13, v2, s20, v12
	v_fma_f16 v12, v2, s20, -v12
	v_mul_f16_e32 v21, 0xb93d, v3
	v_add_f16_e32 v12, v12, v22
	v_mul_f16_e32 v22, 0x3b47, v4
	v_add_f16_e32 v18, v18, v23
	v_add_f16_e32 v13, v13, v24
	v_fma_f16 v23, v19, s21, v21
	v_fma_f16 v21, v19, s19, v21
	;; [unrolled: 1-line block ×3, first 2 shown]
	v_fma_f16 v22, v2, s4, -v22
	v_mul_f16_e32 v4, 0xbbeb, v4
	v_add_f16_e32 v46, v46, v50
	v_add_f16_e32 v21, v21, v27
	v_mul_f16_e32 v27, 0x36a6, v3
	v_add_f16_e32 v22, v22, v29
	v_fma_f16 v29, v2, s6, v4
	v_mul_f16_e32 v3, 0xb08e, v3
	v_fma_f16 v2, v2, s6, -v4
	v_add_f16_e32 v52, v52, v54
	v_add_f16_e32 v51, v51, v55
	;; [unrolled: 1-line block ×5, first 2 shown]
	v_fma_f16 v31, v19, s3, v27
	v_fma_f16 v27, v19, s5, v27
	v_add_f16_e32 v0, v2, v0
	v_fma_f16 v2, v19, s2, v3
	v_add_f16_e32 v48, v48, v52
	v_add_f16_e32 v47, v47, v51
	;; [unrolled: 1-line block ×9, first 2 shown]
	v_fma_f16 v33, v19, s18, v3
	v_pack_b32_f16 v2, v25, v26
	v_pack_b32_f16 v3, v17, v20
	;; [unrolled: 1-line block ×4, first 2 shown]
	v_add_f16_e32 v31, v31, v44
	v_add_f16_e32 v29, v29, v43
	;; [unrolled: 1-line block ×3, first 2 shown]
	s_waitcnt lgkmcnt(0)
	; wave barrier
	ds_write2_b32 v36, v2, v3 offset1:13
	v_pack_b32_f16 v2, v6, v18
	v_pack_b32_f16 v3, v13, v23
	ds_write2_b32 v36, v0, v1 offset0:78 offset1:91
	v_pack_b32_f16 v0, v12, v21
	v_pack_b32_f16 v1, v5, v7
	ds_write2_b32 v36, v2, v3 offset0:26 offset1:39
	;; [unrolled: 3-line block ×3, first 2 shown]
	v_pack_b32_f16 v0, v14, v16
	ds_write2_b32 v36, v2, v3 offset0:52 offset1:65
	ds_write_b32 v36, v0 offset:520
	s_waitcnt lgkmcnt(0)
	; wave barrier
	s_waitcnt lgkmcnt(0)
	ds_read2_b32 v[4:5], v32 offset1:26
	ds_read2_b32 v[0:1], v32 offset0:104 offset1:143
	ds_read2_b32 v[12:13], v32 offset0:169 offset1:195
	;; [unrolled: 1-line block ×4, first 2 shown]
	v_add_u32_e32 v17, 0x1a0, v42
	s_and_saveexec_b64 s[2:3], s[0:1]
	s_cbranch_execz .LBB0_19
; %bb.18:
	v_add_u32_e32 v14, 0x200, v32
	ds_read2_b32 v[14:15], v14 offset0:2 offset1:145
	s_waitcnt lgkmcnt(0)
	v_lshrrev_b32_e32 v16, 16, v14
	v_lshrrev_b32_e32 v28, 16, v15
.LBB0_19:
	s_or_b64 exec, exec, s[2:3]
	s_waitcnt lgkmcnt(3)
	v_lshrrev_b32_e32 v19, 16, v1
	v_mul_f16_sdwa v29, v37, v19 dst_sel:DWORD dst_unused:UNUSED_PAD src0_sel:WORD_1 src1_sel:DWORD
	s_waitcnt lgkmcnt(2)
	v_lshrrev_b32_e32 v21, 16, v12
	v_fma_f16 v29, v37, v1, v29
	v_mul_f16_sdwa v1, v37, v1 dst_sel:DWORD dst_unused:UNUSED_PAD src0_sel:WORD_1 src1_sel:DWORD
	v_fma_f16 v1, v37, v19, -v1
	v_mul_f16_sdwa v19, v38, v21 dst_sel:DWORD dst_unused:UNUSED_PAD src0_sel:WORD_1 src1_sel:DWORD
	v_lshrrev_b32_e32 v23, 16, v13
	v_fma_f16 v19, v38, v12, v19
	v_mul_f16_sdwa v12, v38, v12 dst_sel:DWORD dst_unused:UNUSED_PAD src0_sel:WORD_1 src1_sel:DWORD
	v_fma_f16 v12, v38, v21, -v12
	v_mul_f16_sdwa v21, v39, v23 dst_sel:DWORD dst_unused:UNUSED_PAD src0_sel:WORD_1 src1_sel:DWORD
	s_waitcnt lgkmcnt(0)
	v_lshrrev_b32_e32 v25, 16, v6
	v_fma_f16 v21, v39, v13, v21
	v_mul_f16_sdwa v13, v39, v13 dst_sel:DWORD dst_unused:UNUSED_PAD src0_sel:WORD_1 src1_sel:DWORD
	v_fma_f16 v13, v39, v23, -v13
	v_mul_f16_sdwa v23, v40, v25 dst_sel:DWORD dst_unused:UNUSED_PAD src0_sel:WORD_1 src1_sel:DWORD
	v_lshrrev_b32_e32 v27, 16, v7
	v_fma_f16 v23, v40, v6, v23
	v_mul_f16_sdwa v6, v40, v6 dst_sel:DWORD dst_unused:UNUSED_PAD src0_sel:WORD_1 src1_sel:DWORD
	v_fma_f16 v6, v40, v25, -v6
	v_mul_f16_sdwa v25, v41, v27 dst_sel:DWORD dst_unused:UNUSED_PAD src0_sel:WORD_1 src1_sel:DWORD
	v_fma_f16 v25, v41, v7, v25
	v_mul_f16_sdwa v7, v41, v7 dst_sel:DWORD dst_unused:UNUSED_PAD src0_sel:WORD_1 src1_sel:DWORD
	v_lshrrev_b32_e32 v18, 16, v4
	v_lshrrev_b32_e32 v20, 16, v5
	;; [unrolled: 1-line block ×5, first 2 shown]
	v_fma_f16 v7, v41, v27, -v7
	v_sub_f16_e32 v27, v4, v29
	v_sub_f16_e32 v1, v18, v1
	;; [unrolled: 1-line block ×10, first 2 shown]
	v_fma_f16 v4, v4, 2.0, -v27
	v_fma_f16 v18, v18, 2.0, -v1
	;; [unrolled: 1-line block ×10, first 2 shown]
	v_pack_b32_f16 v4, v4, v18
	v_pack_b32_f16 v1, v27, v1
	;; [unrolled: 1-line block ×6, first 2 shown]
	ds_write2_b32 v35, v4, v5 offset1:26
	v_pack_b32_f16 v4, v19, v12
	v_pack_b32_f16 v5, v21, v13
	ds_write2_b32 v35, v2, v3 offset0:52 offset1:78
	v_pack_b32_f16 v2, v23, v6
	ds_write2_b32 v35, v0, v1 offset0:104 offset1:143
	;; [unrolled: 2-line block ×3, first 2 shown]
	ds_write_b32 v35, v2 offset:884
	ds_write_b32 v17, v0 offset:572
	s_and_saveexec_b64 s[2:3], s[0:1]
	s_cbranch_execz .LBB0_21
; %bb.20:
	v_mul_f16_sdwa v0, v9, v28 dst_sel:DWORD dst_unused:UNUSED_PAD src0_sel:WORD_1 src1_sel:DWORD
	v_mul_f16_sdwa v2, v9, v15 dst_sel:DWORD dst_unused:UNUSED_PAD src0_sel:WORD_1 src1_sel:DWORD
	v_fma_f16 v0, v9, v15, v0
	v_fma_f16 v2, v9, v28, -v2
	v_sub_f16_e32 v0, v14, v0
	v_sub_f16_e32 v2, v16, v2
	v_fma_f16 v1, v14, 2.0, -v0
	v_fma_f16 v3, v16, 2.0, -v2
	v_pack_b32_f16 v1, v1, v3
	v_pack_b32_f16 v0, v0, v2
	v_add_u32_e32 v2, 0x200, v35
	ds_write2_b32 v2, v1, v0 offset0:2 offset1:145
.LBB0_21:
	s_or_b64 exec, exec, s[2:3]
	s_waitcnt lgkmcnt(0)
	; wave barrier
	s_waitcnt lgkmcnt(0)
	s_and_b64 exec, exec, vcc
	s_cbranch_execz .LBB0_23
; %bb.22:
	global_load_dword v6, v11, s[12:13]
	ds_read_b32 v16, v35
	global_load_dword v5, v11, s[12:13] offset:88
	global_load_dword v9, v11, s[12:13] offset:176
	global_load_dword v12, v11, s[12:13] offset:264
	global_load_dword v13, v11, s[12:13] offset:352
	global_load_dword v14, v11, s[12:13] offset:440
	global_load_dword v15, v11, s[12:13] offset:528
	global_load_dword v7, v11, s[12:13] offset:616
	v_mad_u64_u32 v[2:3], s[0:1], s10, v10, 0
	v_mov_b32_e32 v18, v3
	s_waitcnt lgkmcnt(0)
	v_lshrrev_b32_e32 v3, 16, v16
	s_mov_b32 s6, 0x55ee191
	s_mov_b32 s7, 0x3f6ca4b3
	s_movk_i32 s10, 0x1ff
	s_mov_b32 s16, 0x8000
	v_mov_b32_e32 v0, s14
	s_movk_i32 s14, 0xffe
	v_mov_b32_e32 v4, 0x7c00
	v_mov_b32_e32 v1, s15
	s_movk_i32 s15, 0x40f
	s_waitcnt vmcnt(7)
	v_mul_f16_sdwa v19, v16, v6 dst_sel:DWORD dst_unused:UNUSED_PAD src0_sel:DWORD src1_sel:WORD_1
	v_mul_f16_sdwa v17, v3, v6 dst_sel:DWORD dst_unused:UNUSED_PAD src0_sel:DWORD src1_sel:WORD_1
	v_fma_f16 v3, v6, v3, -v19
	v_fma_f16 v16, v16, v6, v17
	v_cvt_f32_f16_e32 v19, v3
	v_cvt_f32_f16_e32 v6, v16
	v_mad_u64_u32 v[16:17], s[0:1], s11, v10, v[18:19]
	v_mov_b32_e32 v3, v16
	v_cvt_f64_f32_e32 v[16:17], v6
	v_cvt_f64_f32_e32 v[18:19], v19
	v_mul_f64 v[16:17], v[16:17], s[6:7]
	v_mul_f64 v[18:19], v[18:19], s[6:7]
	v_and_or_b32 v6, v17, s10, v16
	v_lshrrev_b32_e32 v10, 8, v17
	v_bfe_u32 v16, v17, 20, 11
	v_and_b32_sdwa v22, v17, s16 dst_sel:DWORD dst_unused:UNUSED_PAD src0_sel:WORD_1 src1_sel:DWORD
	v_and_or_b32 v17, v19, s10, v18
	v_cmp_ne_u32_e32 vcc, 0, v6
	v_lshrrev_b32_e32 v18, 8, v19
	v_bfe_u32 v20, v19, 20, 11
	v_cndmask_b32_e64 v6, 0, 1, vcc
	v_cmp_ne_u32_e32 vcc, 0, v17
	v_sub_u32_e32 v21, 0x3f1, v16
	v_and_or_b32 v6, v10, s14, v6
	v_cndmask_b32_e64 v17, 0, 1, vcc
	v_sub_u32_e32 v23, 0x3f1, v20
	v_med3_i32 v10, v21, 0, 13
	v_and_or_b32 v17, v18, s14, v17
	v_or_b32_e32 v21, 0x1000, v6
	v_add_u32_e32 v16, 0xfffffc10, v16
	v_med3_i32 v18, v23, 0, 13
	v_cmp_ne_u32_e32 vcc, 0, v6
	v_or_b32_e32 v24, 0x1000, v17
	v_lshrrev_b32_e32 v26, v10, v21
	v_add_u32_e32 v20, 0xfffffc10, v20
	v_lshl_or_b32 v23, v16, 12, v6
	v_cndmask_b32_e64 v6, 0, 1, vcc
	v_cmp_ne_u32_e32 vcc, 0, v17
	v_lshrrev_b32_e32 v27, v18, v24
	v_lshlrev_b32_e32 v10, v10, v26
	v_lshl_or_b32 v25, v20, 12, v17
	v_cndmask_b32_e64 v17, 0, 1, vcc
	v_lshlrev_b32_e32 v18, v18, v27
	v_cmp_ne_u32_e32 vcc, v10, v21
	v_lshl_or_b32 v6, v6, 9, v4
	v_lshl_or_b32 v17, v17, 9, v4
	v_cndmask_b32_e64 v10, 0, 1, vcc
	v_cmp_ne_u32_e32 vcc, v18, v24
	v_or_b32_e32 v10, v26, v10
	v_lshrrev_b32_e32 v19, 16, v19
	v_cndmask_b32_e64 v18, 0, 1, vcc
	v_cmp_gt_i32_e32 vcc, 1, v16
	v_or_b32_e32 v18, v27, v18
	v_lshl_add_u64 v[0:1], v[2:3], 2, v[0:1]
	v_cndmask_b32_e32 v10, v23, v10, vcc
	v_cmp_gt_i32_e32 vcc, 1, v20
	v_and_b32_e32 v21, 7, v10
	v_cmp_eq_u32_e64 s[0:1], 3, v21
	v_cndmask_b32_e32 v18, v25, v18, vcc
	v_cmp_lt_i32_e32 vcc, 5, v21
	v_lshrrev_b32_e32 v10, 2, v10
	v_and_b32_e32 v23, 7, v18
	s_or_b64 vcc, s[0:1], vcc
	v_cmp_lt_i32_e64 s[2:3], 5, v23
	v_cmp_eq_u32_e64 s[4:5], 3, v23
	v_addc_co_u32_e32 v10, vcc, 0, v10, vcc
	v_lshrrev_b32_e32 v18, 2, v18
	s_or_b64 vcc, s[4:5], s[2:3]
	v_addc_co_u32_e32 v18, vcc, 0, v18, vcc
	v_cmp_gt_i32_e32 vcc, 31, v16
	s_mov_b32 s2, 0xffff
	s_mul_i32 s3, s9, 0x58
	v_cndmask_b32_e32 v10, v4, v10, vcc
	v_cmp_gt_i32_e32 vcc, 31, v20
	s_nop 1
	v_cndmask_b32_e32 v18, v4, v18, vcc
	v_cmp_eq_u32_e32 vcc, s15, v16
	s_nop 1
	v_cndmask_b32_e32 v10, v10, v6, vcc
	v_cmp_eq_u32_e32 vcc, s15, v20
	s_nop 1
	v_cndmask_b32_e32 v6, v18, v17, vcc
	v_mad_u64_u32 v[16:17], s[0:1], s8, v8, 0
	v_and_or_b32 v23, v19, s16, v6
	v_mov_b32_e32 v6, v17
	s_waitcnt vmcnt(0)
	v_mad_u64_u32 v[18:19], s[0:1], s9, v8, v[6:7]
	v_lshl_add_u32 v6, v30, 2, v11
	ds_read2_b32 v[20:21], v6 offset0:22 offset1:44
	v_bitop3_b32 v8, v22, s2, v10 bitop3:0xc8
	v_mov_b32_e32 v17, v18
	v_lshl_or_b32 v8, v23, 16, v8
	v_lshl_add_u64 v[0:1], v[16:17], 2, v[0:1]
	s_waitcnt lgkmcnt(0)
	v_lshrrev_b32_e32 v10, 16, v20
	v_mul_f16_sdwa v18, v10, v5 dst_sel:DWORD dst_unused:UNUSED_PAD src0_sel:DWORD src1_sel:WORD_1
	v_fma_f16 v18, v20, v5, v18
	v_cvt_f32_f16_e32 v18, v18
	global_store_dword v[0:1], v8, off
	v_cvt_f64_f32_e32 v[2:3], v18
	v_mul_f64 v[2:3], v[2:3], s[6:7]
	v_and_or_b32 v2, v3, s10, v2
	v_cmp_ne_u32_e32 vcc, 0, v2
	v_lshrrev_b32_e32 v8, 8, v3
	v_bfe_u32 v16, v3, 20, 11
	v_cndmask_b32_e64 v2, 0, 1, vcc
	v_and_or_b32 v2, v8, s14, v2
	v_sub_u32_e32 v17, 0x3f1, v16
	v_or_b32_e32 v8, 0x1000, v2
	v_med3_i32 v17, v17, 0, 13
	v_lshrrev_b32_e32 v18, v17, v8
	v_lshlrev_b32_e32 v17, v17, v18
	v_cmp_ne_u32_e32 vcc, v17, v8
	v_add_u32_e32 v16, 0xfffffc10, v16
	v_lshl_or_b32 v17, v16, 12, v2
	v_cndmask_b32_e64 v8, 0, 1, vcc
	v_or_b32_e32 v8, v18, v8
	v_cmp_gt_i32_e32 vcc, 1, v16
	s_nop 1
	v_cndmask_b32_e32 v8, v17, v8, vcc
	v_and_b32_e32 v17, 7, v8
	v_cmp_lt_i32_e32 vcc, 5, v17
	v_cmp_eq_u32_e64 s[0:1], 3, v17
	v_lshrrev_b32_e32 v8, 2, v8
	s_or_b64 vcc, s[0:1], vcc
	v_mul_f16_sdwa v17, v20, v5 dst_sel:DWORD dst_unused:UNUSED_PAD src0_sel:DWORD src1_sel:WORD_1
	v_addc_co_u32_e32 v8, vcc, 0, v8, vcc
	v_fma_f16 v5, v5, v10, -v17
	v_cmp_gt_i32_e32 vcc, 31, v16
	v_cvt_f32_f16_e32 v5, v5
	v_and_b32_sdwa v10, v3, s16 dst_sel:DWORD dst_unused:UNUSED_PAD src0_sel:WORD_1 src1_sel:DWORD
	v_cndmask_b32_e32 v8, v4, v8, vcc
	v_cmp_ne_u32_e32 vcc, 0, v2
	s_nop 1
	v_cndmask_b32_e64 v2, 0, 1, vcc
	v_lshl_or_b32 v2, v2, 9, v4
	v_cmp_eq_u32_e32 vcc, s15, v16
	s_nop 1
	v_cndmask_b32_e32 v8, v8, v2, vcc
	v_cvt_f64_f32_e32 v[2:3], v5
	v_mul_f64 v[2:3], v[2:3], s[6:7]
	v_and_or_b32 v2, v3, s10, v2
	v_cmp_ne_u32_e32 vcc, 0, v2
	v_lshrrev_b32_e32 v5, 8, v3
	v_bfe_u32 v16, v3, 20, 11
	v_cndmask_b32_e64 v2, 0, 1, vcc
	v_and_or_b32 v2, v5, s14, v2
	v_sub_u32_e32 v17, 0x3f1, v16
	v_or_b32_e32 v5, 0x1000, v2
	v_med3_i32 v17, v17, 0, 13
	v_lshrrev_b32_e32 v18, v17, v5
	v_lshlrev_b32_e32 v17, v17, v18
	v_cmp_ne_u32_e32 vcc, v17, v5
	v_add_u32_e32 v16, 0xfffffc10, v16
	v_lshl_or_b32 v17, v16, 12, v2
	v_cndmask_b32_e64 v5, 0, 1, vcc
	v_or_b32_e32 v5, v18, v5
	v_cmp_gt_i32_e32 vcc, 1, v16
	v_lshrrev_b32_e32 v3, 16, v3
	s_nop 0
	v_cndmask_b32_e32 v5, v17, v5, vcc
	v_and_b32_e32 v17, 7, v5
	v_cmp_lt_i32_e32 vcc, 5, v17
	v_cmp_eq_u32_e64 s[0:1], 3, v17
	v_lshrrev_b32_e32 v5, 2, v5
	s_or_b64 vcc, s[0:1], vcc
	v_addc_co_u32_e32 v5, vcc, 0, v5, vcc
	v_cmp_gt_i32_e32 vcc, 31, v16
	s_nop 1
	v_cndmask_b32_e32 v5, v4, v5, vcc
	v_cmp_ne_u32_e32 vcc, 0, v2
	s_nop 1
	v_cndmask_b32_e64 v2, 0, 1, vcc
	v_lshl_or_b32 v2, v2, 9, v4
	v_cmp_eq_u32_e32 vcc, s15, v16
	s_nop 1
	v_cndmask_b32_e32 v2, v5, v2, vcc
	v_and_or_b32 v2, v3, s16, v2
	v_bitop3_b32 v3, v10, s2, v8 bitop3:0xc8
	v_lshrrev_b32_e32 v8, 16, v21
	v_lshl_or_b32 v2, v2, 16, v3
	v_mul_f16_sdwa v3, v8, v9 dst_sel:DWORD dst_unused:UNUSED_PAD src0_sel:DWORD src1_sel:WORD_1
	v_fma_f16 v3, v21, v9, v3
	v_cvt_f32_f16_e32 v3, v3
	v_mov_b32_e32 v5, 0x58
	v_mad_u64_u32 v[0:1], s[0:1], s8, v5, v[0:1]
	v_add_u32_e32 v1, s3, v1
	global_store_dword v[0:1], v2, off
	v_cvt_f64_f32_e32 v[2:3], v3
	v_mul_f64 v[2:3], v[2:3], s[6:7]
	v_and_or_b32 v2, v3, s10, v2
	v_cmp_ne_u32_e32 vcc, 0, v2
	v_lshrrev_b32_e32 v10, 8, v3
	v_bfe_u32 v16, v3, 20, 11
	v_cndmask_b32_e64 v2, 0, 1, vcc
	v_and_or_b32 v2, v10, s14, v2
	v_sub_u32_e32 v17, 0x3f1, v16
	v_or_b32_e32 v10, 0x1000, v2
	v_med3_i32 v17, v17, 0, 13
	v_lshrrev_b32_e32 v18, v17, v10
	v_lshlrev_b32_e32 v17, v17, v18
	v_cmp_ne_u32_e32 vcc, v17, v10
	v_add_u32_e32 v16, 0xfffffc10, v16
	v_lshl_or_b32 v17, v16, 12, v2
	v_cndmask_b32_e64 v10, 0, 1, vcc
	v_or_b32_e32 v10, v18, v10
	v_cmp_gt_i32_e32 vcc, 1, v16
	s_nop 1
	v_cndmask_b32_e32 v10, v17, v10, vcc
	v_and_b32_e32 v17, 7, v10
	v_cmp_lt_i32_e32 vcc, 5, v17
	v_cmp_eq_u32_e64 s[0:1], 3, v17
	v_lshrrev_b32_e32 v10, 2, v10
	s_or_b64 vcc, s[0:1], vcc
	v_mul_f16_sdwa v17, v21, v9 dst_sel:DWORD dst_unused:UNUSED_PAD src0_sel:DWORD src1_sel:WORD_1
	v_addc_co_u32_e32 v10, vcc, 0, v10, vcc
	v_fma_f16 v8, v9, v8, -v17
	v_cmp_gt_i32_e32 vcc, 31, v16
	v_cvt_f32_f16_e32 v8, v8
	s_nop 0
	v_cndmask_b32_e32 v10, v4, v10, vcc
	v_cmp_ne_u32_e32 vcc, 0, v2
	s_nop 1
	v_cndmask_b32_e64 v2, 0, 1, vcc
	v_lshl_or_b32 v2, v2, 9, v4
	v_cmp_eq_u32_e32 vcc, s15, v16
	v_and_b32_sdwa v16, v3, s16 dst_sel:DWORD dst_unused:UNUSED_PAD src0_sel:WORD_1 src1_sel:DWORD
	s_nop 0
	v_cndmask_b32_e32 v10, v10, v2, vcc
	v_cvt_f64_f32_e32 v[2:3], v8
	v_mul_f64 v[2:3], v[2:3], s[6:7]
	v_and_or_b32 v2, v3, s10, v2
	v_cmp_ne_u32_e32 vcc, 0, v2
	v_lshrrev_b32_e32 v8, 8, v3
	v_bfe_u32 v9, v3, 20, 11
	v_cndmask_b32_e64 v2, 0, 1, vcc
	v_and_or_b32 v2, v8, s14, v2
	v_sub_u32_e32 v17, 0x3f1, v9
	v_or_b32_e32 v8, 0x1000, v2
	v_med3_i32 v17, v17, 0, 13
	v_lshrrev_b32_e32 v18, v17, v8
	v_lshlrev_b32_e32 v17, v17, v18
	v_cmp_ne_u32_e32 vcc, v17, v8
	v_add_u32_e32 v9, 0xfffffc10, v9
	v_lshl_or_b32 v17, v9, 12, v2
	v_cndmask_b32_e64 v8, 0, 1, vcc
	v_or_b32_e32 v8, v18, v8
	v_cmp_gt_i32_e32 vcc, 1, v9
	v_lshrrev_b32_e32 v3, 16, v3
	s_nop 0
	v_cndmask_b32_e32 v8, v17, v8, vcc
	v_and_b32_e32 v17, 7, v8
	v_cmp_lt_i32_e32 vcc, 5, v17
	v_cmp_eq_u32_e64 s[0:1], 3, v17
	v_lshrrev_b32_e32 v8, 2, v8
	s_or_b64 vcc, s[0:1], vcc
	v_addc_co_u32_e32 v8, vcc, 0, v8, vcc
	v_cmp_gt_i32_e32 vcc, 31, v9
	v_mad_u64_u32 v[0:1], s[0:1], s8, v5, v[0:1]
	s_nop 0
	v_cndmask_b32_e32 v8, v4, v8, vcc
	v_cmp_ne_u32_e32 vcc, 0, v2
	v_add_u32_e32 v1, s3, v1
	s_nop 0
	v_cndmask_b32_e64 v2, 0, 1, vcc
	v_lshl_or_b32 v2, v2, 9, v4
	v_cmp_eq_u32_e32 vcc, s15, v9
	s_nop 1
	v_cndmask_b32_e32 v2, v8, v2, vcc
	ds_read2_b32 v[8:9], v6 offset0:66 offset1:88
	v_and_or_b32 v2, v3, s16, v2
	v_bitop3_b32 v3, v16, s2, v10 bitop3:0xc8
	v_lshl_or_b32 v2, v2, 16, v3
	global_store_dword v[0:1], v2, off
	s_waitcnt lgkmcnt(0)
	v_lshrrev_b32_e32 v10, 16, v8
	v_mul_f16_sdwa v3, v10, v12 dst_sel:DWORD dst_unused:UNUSED_PAD src0_sel:DWORD src1_sel:WORD_1
	v_fma_f16 v3, v8, v12, v3
	v_cvt_f32_f16_e32 v3, v3
	v_mul_f16_sdwa v8, v8, v12 dst_sel:DWORD dst_unused:UNUSED_PAD src0_sel:DWORD src1_sel:WORD_1
	v_fma_f16 v8, v12, v10, -v8
	v_cvt_f32_f16_e32 v8, v8
	v_cvt_f64_f32_e32 v[2:3], v3
	v_mul_f64 v[2:3], v[2:3], s[6:7]
	v_and_or_b32 v2, v3, s10, v2
	v_cmp_ne_u32_e32 vcc, 0, v2
	v_lshrrev_b32_e32 v16, 8, v3
	v_bfe_u32 v17, v3, 20, 11
	v_cndmask_b32_e64 v2, 0, 1, vcc
	v_and_or_b32 v2, v16, s14, v2
	v_sub_u32_e32 v18, 0x3f1, v17
	v_or_b32_e32 v16, 0x1000, v2
	v_med3_i32 v18, v18, 0, 13
	v_lshrrev_b32_e32 v19, v18, v16
	v_lshlrev_b32_e32 v18, v18, v19
	v_cmp_ne_u32_e32 vcc, v18, v16
	v_add_u32_e32 v17, 0xfffffc10, v17
	v_lshl_or_b32 v18, v17, 12, v2
	v_cndmask_b32_e64 v16, 0, 1, vcc
	v_or_b32_e32 v16, v19, v16
	v_cmp_gt_i32_e32 vcc, 1, v17
	v_and_b32_sdwa v12, v3, s16 dst_sel:DWORD dst_unused:UNUSED_PAD src0_sel:WORD_1 src1_sel:DWORD
	s_nop 0
	v_cndmask_b32_e32 v16, v18, v16, vcc
	v_and_b32_e32 v18, 7, v16
	v_cmp_lt_i32_e32 vcc, 5, v18
	v_cmp_eq_u32_e64 s[0:1], 3, v18
	v_lshrrev_b32_e32 v16, 2, v16
	s_or_b64 vcc, s[0:1], vcc
	v_addc_co_u32_e32 v16, vcc, 0, v16, vcc
	v_cmp_gt_i32_e32 vcc, 31, v17
	s_nop 1
	v_cndmask_b32_e32 v16, v4, v16, vcc
	v_cmp_ne_u32_e32 vcc, 0, v2
	s_nop 1
	v_cndmask_b32_e64 v2, 0, 1, vcc
	v_lshl_or_b32 v2, v2, 9, v4
	v_cmp_eq_u32_e32 vcc, s15, v17
	s_nop 1
	v_cndmask_b32_e32 v10, v16, v2, vcc
	v_cvt_f64_f32_e32 v[2:3], v8
	v_mul_f64 v[2:3], v[2:3], s[6:7]
	v_and_or_b32 v2, v3, s10, v2
	v_cmp_ne_u32_e32 vcc, 0, v2
	v_lshrrev_b32_e32 v8, 8, v3
	v_bfe_u32 v16, v3, 20, 11
	v_cndmask_b32_e64 v2, 0, 1, vcc
	v_and_or_b32 v2, v8, s14, v2
	v_sub_u32_e32 v17, 0x3f1, v16
	v_or_b32_e32 v8, 0x1000, v2
	v_med3_i32 v17, v17, 0, 13
	v_lshrrev_b32_e32 v18, v17, v8
	v_lshlrev_b32_e32 v17, v17, v18
	v_cmp_ne_u32_e32 vcc, v17, v8
	v_add_u32_e32 v16, 0xfffffc10, v16
	v_lshl_or_b32 v17, v16, 12, v2
	v_cndmask_b32_e64 v8, 0, 1, vcc
	v_or_b32_e32 v8, v18, v8
	v_cmp_gt_i32_e32 vcc, 1, v16
	v_lshrrev_b32_e32 v3, 16, v3
	s_nop 0
	v_cndmask_b32_e32 v8, v17, v8, vcc
	v_and_b32_e32 v17, 7, v8
	v_cmp_lt_i32_e32 vcc, 5, v17
	v_cmp_eq_u32_e64 s[0:1], 3, v17
	v_lshrrev_b32_e32 v8, 2, v8
	s_or_b64 vcc, s[0:1], vcc
	v_addc_co_u32_e32 v8, vcc, 0, v8, vcc
	v_cmp_gt_i32_e32 vcc, 31, v16
	v_mad_u64_u32 v[0:1], s[0:1], s8, v5, v[0:1]
	s_nop 0
	v_cndmask_b32_e32 v8, v4, v8, vcc
	v_cmp_ne_u32_e32 vcc, 0, v2
	v_add_u32_e32 v1, s3, v1
	s_nop 0
	v_cndmask_b32_e64 v2, 0, 1, vcc
	v_lshl_or_b32 v2, v2, 9, v4
	v_cmp_eq_u32_e32 vcc, s15, v16
	s_nop 1
	v_cndmask_b32_e32 v2, v8, v2, vcc
	v_and_or_b32 v2, v3, s16, v2
	v_bitop3_b32 v3, v12, s2, v10 bitop3:0xc8
	v_lshrrev_b32_e32 v8, 16, v9
	v_lshl_or_b32 v2, v2, 16, v3
	v_mul_f16_sdwa v3, v8, v13 dst_sel:DWORD dst_unused:UNUSED_PAD src0_sel:DWORD src1_sel:WORD_1
	v_fma_f16 v3, v9, v13, v3
	v_cvt_f32_f16_e32 v3, v3
	global_store_dword v[0:1], v2, off
	v_mul_f16_sdwa v9, v9, v13 dst_sel:DWORD dst_unused:UNUSED_PAD src0_sel:DWORD src1_sel:WORD_1
	v_fma_f16 v8, v13, v8, -v9
	v_cvt_f64_f32_e32 v[2:3], v3
	v_mul_f64 v[2:3], v[2:3], s[6:7]
	v_and_or_b32 v2, v3, s10, v2
	v_cmp_ne_u32_e32 vcc, 0, v2
	v_lshrrev_b32_e32 v10, 8, v3
	v_bfe_u32 v12, v3, 20, 11
	v_cndmask_b32_e64 v2, 0, 1, vcc
	v_and_or_b32 v2, v10, s14, v2
	v_sub_u32_e32 v16, 0x3f1, v12
	v_or_b32_e32 v10, 0x1000, v2
	v_med3_i32 v16, v16, 0, 13
	v_lshrrev_b32_e32 v17, v16, v10
	v_lshlrev_b32_e32 v16, v16, v17
	v_cmp_ne_u32_e32 vcc, v16, v10
	v_add_u32_e32 v12, 0xfffffc10, v12
	v_lshl_or_b32 v16, v12, 12, v2
	v_cndmask_b32_e64 v10, 0, 1, vcc
	v_or_b32_e32 v10, v17, v10
	v_cmp_gt_i32_e32 vcc, 1, v12
	v_cvt_f32_f16_e32 v8, v8
	s_nop 0
	v_cndmask_b32_e32 v10, v16, v10, vcc
	v_and_b32_e32 v16, 7, v10
	v_cmp_lt_i32_e32 vcc, 5, v16
	v_cmp_eq_u32_e64 s[0:1], 3, v16
	v_lshrrev_b32_e32 v10, 2, v10
	s_or_b64 vcc, s[0:1], vcc
	v_addc_co_u32_e32 v10, vcc, 0, v10, vcc
	v_cmp_gt_i32_e32 vcc, 31, v12
	s_nop 1
	v_cndmask_b32_e32 v10, v4, v10, vcc
	v_cmp_ne_u32_e32 vcc, 0, v2
	s_nop 1
	v_cndmask_b32_e64 v2, 0, 1, vcc
	v_lshl_or_b32 v2, v2, 9, v4
	v_cmp_eq_u32_e32 vcc, s15, v12
	v_and_b32_sdwa v12, v3, s16 dst_sel:DWORD dst_unused:UNUSED_PAD src0_sel:WORD_1 src1_sel:DWORD
	s_nop 0
	v_cndmask_b32_e32 v10, v10, v2, vcc
	v_cvt_f64_f32_e32 v[2:3], v8
	v_mul_f64 v[2:3], v[2:3], s[6:7]
	v_and_or_b32 v2, v3, s10, v2
	v_cmp_ne_u32_e32 vcc, 0, v2
	v_lshrrev_b32_e32 v8, 8, v3
	v_bfe_u32 v9, v3, 20, 11
	v_cndmask_b32_e64 v2, 0, 1, vcc
	v_and_or_b32 v2, v8, s14, v2
	v_sub_u32_e32 v13, 0x3f1, v9
	v_or_b32_e32 v8, 0x1000, v2
	v_med3_i32 v13, v13, 0, 13
	v_lshrrev_b32_e32 v16, v13, v8
	v_lshlrev_b32_e32 v13, v13, v16
	v_cmp_ne_u32_e32 vcc, v13, v8
	v_add_u32_e32 v9, 0xfffffc10, v9
	v_lshl_or_b32 v13, v9, 12, v2
	v_cndmask_b32_e64 v8, 0, 1, vcc
	v_or_b32_e32 v8, v16, v8
	v_cmp_gt_i32_e32 vcc, 1, v9
	v_lshrrev_b32_e32 v3, 16, v3
	s_nop 0
	v_cndmask_b32_e32 v8, v13, v8, vcc
	v_and_b32_e32 v13, 7, v8
	v_cmp_lt_i32_e32 vcc, 5, v13
	v_cmp_eq_u32_e64 s[0:1], 3, v13
	v_lshrrev_b32_e32 v8, 2, v8
	s_or_b64 vcc, s[0:1], vcc
	v_addc_co_u32_e32 v8, vcc, 0, v8, vcc
	v_cmp_gt_i32_e32 vcc, 31, v9
	v_mad_u64_u32 v[0:1], s[0:1], s8, v5, v[0:1]
	s_nop 0
	v_cndmask_b32_e32 v8, v4, v8, vcc
	v_cmp_ne_u32_e32 vcc, 0, v2
	v_add_u32_e32 v1, s3, v1
	s_nop 0
	v_cndmask_b32_e64 v2, 0, 1, vcc
	v_lshl_or_b32 v2, v2, 9, v4
	v_cmp_eq_u32_e32 vcc, s15, v9
	s_nop 1
	v_cndmask_b32_e32 v2, v8, v2, vcc
	ds_read2_b32 v[8:9], v6 offset0:110 offset1:132
	v_and_or_b32 v2, v3, s16, v2
	v_bitop3_b32 v3, v12, s2, v10 bitop3:0xc8
	v_lshl_or_b32 v2, v2, 16, v3
	global_store_dword v[0:1], v2, off
	s_waitcnt lgkmcnt(0)
	v_lshrrev_b32_e32 v10, 16, v8
	v_mul_f16_sdwa v3, v10, v14 dst_sel:DWORD dst_unused:UNUSED_PAD src0_sel:DWORD src1_sel:WORD_1
	v_fma_f16 v3, v8, v14, v3
	v_cvt_f32_f16_e32 v3, v3
	v_mul_f16_sdwa v8, v8, v14 dst_sel:DWORD dst_unused:UNUSED_PAD src0_sel:DWORD src1_sel:WORD_1
	v_fma_f16 v8, v14, v10, -v8
	v_cvt_f32_f16_e32 v8, v8
	v_cvt_f64_f32_e32 v[2:3], v3
	v_mul_f64 v[2:3], v[2:3], s[6:7]
	v_and_or_b32 v2, v3, s10, v2
	v_cmp_ne_u32_e32 vcc, 0, v2
	v_lshrrev_b32_e32 v12, 8, v3
	v_bfe_u32 v13, v3, 20, 11
	v_cndmask_b32_e64 v2, 0, 1, vcc
	v_and_or_b32 v2, v12, s14, v2
	v_sub_u32_e32 v16, 0x3f1, v13
	v_or_b32_e32 v12, 0x1000, v2
	v_med3_i32 v16, v16, 0, 13
	v_lshrrev_b32_e32 v17, v16, v12
	v_lshlrev_b32_e32 v16, v16, v17
	v_cmp_ne_u32_e32 vcc, v16, v12
	v_add_u32_e32 v13, 0xfffffc10, v13
	v_lshl_or_b32 v16, v13, 12, v2
	v_cndmask_b32_e64 v12, 0, 1, vcc
	v_or_b32_e32 v12, v17, v12
	v_cmp_gt_i32_e32 vcc, 1, v13
	s_nop 1
	v_cndmask_b32_e32 v12, v16, v12, vcc
	v_and_b32_e32 v16, 7, v12
	v_cmp_lt_i32_e32 vcc, 5, v16
	v_cmp_eq_u32_e64 s[0:1], 3, v16
	v_lshrrev_b32_e32 v12, 2, v12
	s_or_b64 vcc, s[0:1], vcc
	v_addc_co_u32_e32 v12, vcc, 0, v12, vcc
	v_cmp_gt_i32_e32 vcc, 31, v13
	s_nop 1
	v_cndmask_b32_e32 v12, v4, v12, vcc
	v_cmp_ne_u32_e32 vcc, 0, v2
	s_nop 1
	v_cndmask_b32_e64 v2, 0, 1, vcc
	v_lshl_or_b32 v2, v2, 9, v4
	v_cmp_eq_u32_e32 vcc, s15, v13
	s_nop 1
	v_cndmask_b32_e32 v10, v12, v2, vcc
	v_and_b32_sdwa v12, v3, s16 dst_sel:DWORD dst_unused:UNUSED_PAD src0_sel:WORD_1 src1_sel:DWORD
	v_cvt_f64_f32_e32 v[2:3], v8
	v_mul_f64 v[2:3], v[2:3], s[6:7]
	v_and_or_b32 v2, v3, s10, v2
	v_cmp_ne_u32_e32 vcc, 0, v2
	v_lshrrev_b32_e32 v8, 8, v3
	v_bfe_u32 v13, v3, 20, 11
	v_cndmask_b32_e64 v2, 0, 1, vcc
	v_and_or_b32 v2, v8, s14, v2
	v_sub_u32_e32 v14, 0x3f1, v13
	v_or_b32_e32 v8, 0x1000, v2
	v_med3_i32 v14, v14, 0, 13
	v_lshrrev_b32_e32 v16, v14, v8
	v_lshlrev_b32_e32 v14, v14, v16
	v_cmp_ne_u32_e32 vcc, v14, v8
	v_add_u32_e32 v13, 0xfffffc10, v13
	v_lshl_or_b32 v14, v13, 12, v2
	v_cndmask_b32_e64 v8, 0, 1, vcc
	v_or_b32_e32 v8, v16, v8
	v_cmp_gt_i32_e32 vcc, 1, v13
	v_lshrrev_b32_e32 v3, 16, v3
	s_nop 0
	v_cndmask_b32_e32 v8, v14, v8, vcc
	v_and_b32_e32 v14, 7, v8
	v_cmp_lt_i32_e32 vcc, 5, v14
	v_cmp_eq_u32_e64 s[0:1], 3, v14
	v_lshrrev_b32_e32 v8, 2, v8
	s_or_b64 vcc, s[0:1], vcc
	v_addc_co_u32_e32 v8, vcc, 0, v8, vcc
	v_cmp_gt_i32_e32 vcc, 31, v13
	s_nop 1
	v_cndmask_b32_e32 v8, v4, v8, vcc
	v_cmp_ne_u32_e32 vcc, 0, v2
	s_nop 1
	v_cndmask_b32_e64 v2, 0, 1, vcc
	v_lshl_or_b32 v2, v2, 9, v4
	v_cmp_eq_u32_e32 vcc, s15, v13
	s_nop 1
	v_cndmask_b32_e32 v2, v8, v2, vcc
	v_and_or_b32 v2, v3, s16, v2
	v_bitop3_b32 v3, v12, s2, v10 bitop3:0xc8
	v_lshrrev_b32_e32 v10, 16, v9
	v_lshl_or_b32 v8, v2, 16, v3
	v_mul_f16_sdwa v2, v10, v15 dst_sel:DWORD dst_unused:UNUSED_PAD src0_sel:DWORD src1_sel:WORD_1
	v_fma_f16 v2, v9, v15, v2
	v_cvt_f32_f16_e32 v12, v2
	v_mad_u64_u32 v[2:3], s[0:1], s8, v5, v[0:1]
	v_add_u32_e32 v3, s3, v3
	v_cvt_f64_f32_e32 v[0:1], v12
	v_mul_f64 v[0:1], v[0:1], s[6:7]
	v_and_or_b32 v0, v1, s10, v0
	v_cmp_ne_u32_e32 vcc, 0, v0
	global_store_dword v[2:3], v8, off
	v_lshrrev_b32_e32 v8, 8, v1
	v_cndmask_b32_e64 v0, 0, 1, vcc
	v_bfe_u32 v12, v1, 20, 11
	v_and_or_b32 v0, v8, s14, v0
	v_sub_u32_e32 v13, 0x3f1, v12
	v_or_b32_e32 v8, 0x1000, v0
	v_med3_i32 v13, v13, 0, 13
	v_lshrrev_b32_e32 v14, v13, v8
	v_lshlrev_b32_e32 v13, v13, v14
	v_cmp_ne_u32_e32 vcc, v13, v8
	v_add_u32_e32 v12, 0xfffffc10, v12
	v_lshl_or_b32 v13, v12, 12, v0
	v_cndmask_b32_e64 v8, 0, 1, vcc
	v_or_b32_e32 v8, v14, v8
	v_cmp_gt_i32_e32 vcc, 1, v12
	v_mul_f16_sdwa v9, v9, v15 dst_sel:DWORD dst_unused:UNUSED_PAD src0_sel:DWORD src1_sel:WORD_1
	v_fma_f16 v9, v15, v10, -v9
	v_cndmask_b32_e32 v8, v13, v8, vcc
	v_and_b32_e32 v13, 7, v8
	v_cmp_lt_i32_e32 vcc, 5, v13
	v_cmp_eq_u32_e64 s[0:1], 3, v13
	v_lshrrev_b32_e32 v8, 2, v8
	s_or_b64 vcc, s[0:1], vcc
	v_addc_co_u32_e32 v8, vcc, 0, v8, vcc
	v_cmp_gt_i32_e32 vcc, 31, v12
	v_cvt_f32_f16_e32 v9, v9
	s_nop 0
	v_cndmask_b32_e32 v8, v4, v8, vcc
	v_cmp_ne_u32_e32 vcc, 0, v0
	s_nop 1
	v_cndmask_b32_e64 v0, 0, 1, vcc
	v_lshl_or_b32 v0, v0, 9, v4
	v_cmp_eq_u32_e32 vcc, s15, v12
	v_and_b32_sdwa v12, v1, s16 dst_sel:DWORD dst_unused:UNUSED_PAD src0_sel:WORD_1 src1_sel:DWORD
	s_nop 0
	v_cndmask_b32_e32 v10, v8, v0, vcc
	v_cvt_f64_f32_e32 v[0:1], v9
	v_mul_f64 v[8:9], v[0:1], s[6:7]
	v_and_or_b32 v0, v9, s10, v8
	v_cmp_ne_u32_e32 vcc, 0, v0
	v_lshrrev_b32_e32 v1, 8, v9
	v_bfe_u32 v8, v9, 20, 11
	v_cndmask_b32_e64 v0, 0, 1, vcc
	v_and_or_b32 v0, v1, s14, v0
	v_sub_u32_e32 v13, 0x3f1, v8
	v_or_b32_e32 v1, 0x1000, v0
	v_med3_i32 v13, v13, 0, 13
	v_lshrrev_b32_e32 v14, v13, v1
	v_lshlrev_b32_e32 v13, v13, v14
	v_cmp_ne_u32_e32 vcc, v13, v1
	v_add_u32_e32 v8, 0xfffffc10, v8
	v_lshl_or_b32 v13, v8, 12, v0
	v_cndmask_b32_e64 v1, 0, 1, vcc
	v_or_b32_e32 v1, v14, v1
	v_cmp_gt_i32_e32 vcc, 1, v8
	v_lshrrev_b32_e32 v9, 16, v9
	s_nop 0
	v_cndmask_b32_e32 v1, v13, v1, vcc
	v_and_b32_e32 v13, 7, v1
	v_cmp_lt_i32_e32 vcc, 5, v13
	v_cmp_eq_u32_e64 s[0:1], 3, v13
	v_lshrrev_b32_e32 v1, 2, v1
	s_or_b64 vcc, s[0:1], vcc
	v_addc_co_u32_e32 v1, vcc, 0, v1, vcc
	v_cmp_gt_i32_e32 vcc, 31, v8
	v_mad_u64_u32 v[2:3], s[0:1], s8, v5, v[2:3]
	s_nop 0
	v_cndmask_b32_e32 v1, v4, v1, vcc
	v_cmp_ne_u32_e32 vcc, 0, v0
	v_add_u32_e32 v3, s3, v3
	s_nop 0
	v_cndmask_b32_e64 v0, 0, 1, vcc
	v_lshl_or_b32 v0, v0, 9, v4
	v_cmp_eq_u32_e32 vcc, s15, v8
	s_nop 1
	v_cndmask_b32_e32 v8, v1, v0, vcc
	v_and_or_b32 v8, v9, s16, v8
	v_bitop3_b32 v9, v12, s2, v10 bitop3:0xc8
	global_load_dword v12, v11, s[12:13] offset:704
	ds_read2_b32 v[0:1], v6 offset0:154 offset1:176
	v_lshl_or_b32 v8, v8, 16, v9
	global_store_dword v[2:3], v8, off
	s_waitcnt lgkmcnt(0)
	v_lshrrev_b32_e32 v10, 16, v0
	v_mul_f16_sdwa v9, v10, v7 dst_sel:DWORD dst_unused:UNUSED_PAD src0_sel:DWORD src1_sel:WORD_1
	v_fma_f16 v9, v0, v7, v9
	v_cvt_f32_f16_e32 v9, v9
	v_mul_f16_sdwa v0, v0, v7 dst_sel:DWORD dst_unused:UNUSED_PAD src0_sel:DWORD src1_sel:WORD_1
	v_fma_f16 v0, v7, v10, -v0
	v_cvt_f32_f16_e32 v0, v0
	v_cvt_f64_f32_e32 v[8:9], v9
	v_mul_f64 v[8:9], v[8:9], s[6:7]
	v_and_or_b32 v8, v9, s10, v8
	v_cmp_ne_u32_e32 vcc, 0, v8
	v_lshrrev_b32_e32 v13, 8, v9
	v_bfe_u32 v14, v9, 20, 11
	v_cndmask_b32_e64 v8, 0, 1, vcc
	v_and_or_b32 v8, v13, s14, v8
	v_sub_u32_e32 v15, 0x3f1, v14
	v_or_b32_e32 v13, 0x1000, v8
	v_med3_i32 v15, v15, 0, 13
	v_lshrrev_b32_e32 v16, v15, v13
	v_lshlrev_b32_e32 v15, v15, v16
	v_cmp_ne_u32_e32 vcc, v15, v13
	v_add_u32_e32 v14, 0xfffffc10, v14
	v_lshl_or_b32 v15, v14, 12, v8
	v_cndmask_b32_e64 v13, 0, 1, vcc
	v_or_b32_e32 v13, v16, v13
	v_cmp_gt_i32_e32 vcc, 1, v14
	v_and_b32_sdwa v10, v9, s16 dst_sel:DWORD dst_unused:UNUSED_PAD src0_sel:WORD_1 src1_sel:DWORD
	s_nop 0
	v_cndmask_b32_e32 v13, v15, v13, vcc
	v_and_b32_e32 v15, 7, v13
	v_cmp_lt_i32_e32 vcc, 5, v15
	v_cmp_eq_u32_e64 s[0:1], 3, v15
	v_lshrrev_b32_e32 v13, 2, v13
	s_or_b64 vcc, s[0:1], vcc
	v_addc_co_u32_e32 v13, vcc, 0, v13, vcc
	v_cmp_gt_i32_e32 vcc, 31, v14
	s_nop 1
	v_cndmask_b32_e32 v13, v4, v13, vcc
	v_cmp_ne_u32_e32 vcc, 0, v8
	s_nop 1
	v_cndmask_b32_e64 v8, 0, 1, vcc
	v_lshl_or_b32 v8, v8, 9, v4
	v_cmp_eq_u32_e32 vcc, s15, v14
	s_nop 1
	v_cndmask_b32_e32 v7, v13, v8, vcc
	v_cvt_f64_f32_e32 v[8:9], v0
	v_mul_f64 v[8:9], v[8:9], s[6:7]
	v_and_or_b32 v0, v9, s10, v8
	v_cmp_ne_u32_e32 vcc, 0, v0
	v_lshrrev_b32_e32 v8, 8, v9
	v_bfe_u32 v13, v9, 20, 11
	v_cndmask_b32_e64 v0, 0, 1, vcc
	v_and_or_b32 v0, v8, s14, v0
	v_sub_u32_e32 v14, 0x3f1, v13
	v_or_b32_e32 v8, 0x1000, v0
	v_med3_i32 v14, v14, 0, 13
	v_lshrrev_b32_e32 v15, v14, v8
	v_lshlrev_b32_e32 v14, v14, v15
	v_cmp_ne_u32_e32 vcc, v14, v8
	v_add_u32_e32 v13, 0xfffffc10, v13
	v_lshl_or_b32 v14, v13, 12, v0
	v_cndmask_b32_e64 v8, 0, 1, vcc
	v_or_b32_e32 v8, v15, v8
	v_cmp_gt_i32_e32 vcc, 1, v13
	v_bitop3_b32 v7, v10, s2, v7 bitop3:0xc8
	s_nop 0
	v_cndmask_b32_e32 v8, v14, v8, vcc
	v_and_b32_e32 v14, 7, v8
	v_cmp_lt_i32_e32 vcc, 5, v14
	v_cmp_eq_u32_e64 s[0:1], 3, v14
	v_lshrrev_b32_e32 v8, 2, v8
	s_or_b64 vcc, s[0:1], vcc
	v_addc_co_u32_e32 v8, vcc, 0, v8, vcc
	v_cmp_gt_i32_e32 vcc, 31, v13
	v_mad_u64_u32 v[2:3], s[0:1], s8, v5, v[2:3]
	s_nop 0
	v_cndmask_b32_e32 v8, v4, v8, vcc
	v_cmp_ne_u32_e32 vcc, 0, v0
	v_add_u32_e32 v3, s3, v3
	s_nop 0
	v_cndmask_b32_e64 v0, 0, 1, vcc
	v_cmp_eq_u32_e32 vcc, s15, v13
	global_load_dword v10, v11, s[12:13] offset:792
	global_load_dword v13, v11, s[12:13] offset:880
	;; [unrolled: 1-line block ×3, first 2 shown]
	v_lshl_or_b32 v0, v0, 9, v4
	v_cndmask_b32_e32 v0, v8, v0, vcc
	v_lshrrev_b32_e32 v8, 16, v9
	v_and_or_b32 v0, v8, s16, v0
	v_lshl_or_b32 v0, v0, 16, v7
	v_lshrrev_b32_e32 v7, 16, v1
	s_waitcnt vmcnt(4)
	v_mul_f16_sdwa v8, v7, v12 dst_sel:DWORD dst_unused:UNUSED_PAD src0_sel:DWORD src1_sel:WORD_1
	v_fma_f16 v8, v1, v12, v8
	v_cvt_f32_f16_e32 v8, v8
	global_store_dword v[2:3], v0, off
	v_mul_f16_sdwa v1, v1, v12 dst_sel:DWORD dst_unused:UNUSED_PAD src0_sel:DWORD src1_sel:WORD_1
	v_fma_f16 v1, v12, v7, -v1
	v_cvt_f64_f32_e32 v[8:9], v8
	v_mul_f64 v[8:9], v[8:9], s[6:7]
	v_and_or_b32 v0, v9, s10, v8
	v_cmp_ne_u32_e32 vcc, 0, v0
	v_lshrrev_b32_e32 v8, 8, v9
	v_bfe_u32 v15, v9, 20, 11
	v_cndmask_b32_e64 v0, 0, 1, vcc
	v_and_or_b32 v0, v8, s14, v0
	v_sub_u32_e32 v16, 0x3f1, v15
	v_or_b32_e32 v8, 0x1000, v0
	v_med3_i32 v16, v16, 0, 13
	v_lshrrev_b32_e32 v17, v16, v8
	v_lshlrev_b32_e32 v16, v16, v17
	v_cmp_ne_u32_e32 vcc, v16, v8
	v_add_u32_e32 v15, 0xfffffc10, v15
	v_lshl_or_b32 v16, v15, 12, v0
	v_cndmask_b32_e64 v8, 0, 1, vcc
	v_or_b32_e32 v8, v17, v8
	v_cmp_gt_i32_e32 vcc, 1, v15
	v_cvt_f32_f16_e32 v1, v1
	v_and_b32_sdwa v12, v9, s16 dst_sel:DWORD dst_unused:UNUSED_PAD src0_sel:WORD_1 src1_sel:DWORD
	v_cndmask_b32_e32 v8, v16, v8, vcc
	v_and_b32_e32 v16, 7, v8
	v_cmp_lt_i32_e32 vcc, 5, v16
	v_cmp_eq_u32_e64 s[0:1], 3, v16
	v_lshrrev_b32_e32 v8, 2, v8
	s_or_b64 vcc, s[0:1], vcc
	v_addc_co_u32_e32 v8, vcc, 0, v8, vcc
	v_cmp_gt_i32_e32 vcc, 31, v15
	s_nop 1
	v_cndmask_b32_e32 v8, v4, v8, vcc
	v_cmp_ne_u32_e32 vcc, 0, v0
	s_nop 1
	v_cndmask_b32_e64 v0, 0, 1, vcc
	v_lshl_or_b32 v0, v0, 9, v4
	v_cmp_eq_u32_e32 vcc, s15, v15
	s_nop 1
	v_cndmask_b32_e32 v7, v8, v0, vcc
	v_cvt_f64_f32_e32 v[0:1], v1
	v_mul_f64 v[0:1], v[0:1], s[6:7]
	v_and_or_b32 v0, v1, s10, v0
	v_cmp_ne_u32_e32 vcc, 0, v0
	v_lshrrev_b32_e32 v8, 8, v1
	v_bfe_u32 v9, v1, 20, 11
	v_cndmask_b32_e64 v0, 0, 1, vcc
	v_and_or_b32 v0, v8, s14, v0
	v_sub_u32_e32 v15, 0x3f1, v9
	v_or_b32_e32 v8, 0x1000, v0
	v_med3_i32 v15, v15, 0, 13
	v_lshrrev_b32_e32 v16, v15, v8
	v_lshlrev_b32_e32 v15, v15, v16
	v_cmp_ne_u32_e32 vcc, v15, v8
	v_add_u32_e32 v9, 0xfffffc10, v9
	v_lshl_or_b32 v15, v9, 12, v0
	v_cndmask_b32_e64 v8, 0, 1, vcc
	v_or_b32_e32 v8, v16, v8
	v_cmp_gt_i32_e32 vcc, 1, v9
	v_lshrrev_b32_e32 v1, 16, v1
	s_nop 0
	v_cndmask_b32_e32 v8, v15, v8, vcc
	v_and_b32_e32 v15, 7, v8
	v_cmp_lt_i32_e32 vcc, 5, v15
	v_cmp_eq_u32_e64 s[0:1], 3, v15
	v_lshrrev_b32_e32 v8, 2, v8
	s_or_b64 vcc, s[0:1], vcc
	v_addc_co_u32_e32 v8, vcc, 0, v8, vcc
	v_cmp_gt_i32_e32 vcc, 31, v9
	s_nop 1
	v_cndmask_b32_e32 v8, v4, v8, vcc
	v_cmp_ne_u32_e32 vcc, 0, v0
	s_nop 1
	v_cndmask_b32_e64 v0, 0, 1, vcc
	v_lshl_or_b32 v0, v0, 9, v4
	v_cmp_eq_u32_e32 vcc, s15, v9
	s_nop 1
	v_cndmask_b32_e32 v0, v8, v0, vcc
	ds_read2_b32 v[8:9], v6 offset0:198 offset1:220
	v_and_or_b32 v0, v1, s16, v0
	v_bitop3_b32 v1, v12, s2, v7 bitop3:0xc8
	v_lshl_or_b32 v7, v0, 16, v1
	v_add_u32_e32 v6, 0x200, v6
	s_waitcnt lgkmcnt(0)
	v_lshrrev_b32_e32 v12, 16, v8
	s_waitcnt vmcnt(3)
	v_mul_f16_sdwa v0, v12, v10 dst_sel:DWORD dst_unused:UNUSED_PAD src0_sel:DWORD src1_sel:WORD_1
	v_fma_f16 v0, v8, v10, v0
	v_cvt_f32_f16_e32 v15, v0
	v_mad_u64_u32 v[0:1], s[0:1], s8, v5, v[2:3]
	v_add_u32_e32 v1, s3, v1
	v_cvt_f64_f32_e32 v[2:3], v15
	v_mul_f64 v[2:3], v[2:3], s[6:7]
	v_and_or_b32 v2, v3, s10, v2
	v_cmp_ne_u32_e32 vcc, 0, v2
	global_store_dword v[0:1], v7, off
	v_lshrrev_b32_e32 v7, 8, v3
	v_cndmask_b32_e64 v2, 0, 1, vcc
	v_bfe_u32 v15, v3, 20, 11
	v_and_or_b32 v2, v7, s14, v2
	v_sub_u32_e32 v16, 0x3f1, v15
	v_or_b32_e32 v7, 0x1000, v2
	v_med3_i32 v16, v16, 0, 13
	v_lshrrev_b32_e32 v17, v16, v7
	v_lshlrev_b32_e32 v16, v16, v17
	v_cmp_ne_u32_e32 vcc, v16, v7
	v_add_u32_e32 v15, 0xfffffc10, v15
	v_lshl_or_b32 v16, v15, 12, v2
	v_cndmask_b32_e64 v7, 0, 1, vcc
	v_or_b32_e32 v7, v17, v7
	v_cmp_gt_i32_e32 vcc, 1, v15
	v_mul_f16_sdwa v8, v8, v10 dst_sel:DWORD dst_unused:UNUSED_PAD src0_sel:DWORD src1_sel:WORD_1
	v_fma_f16 v8, v10, v12, -v8
	v_cndmask_b32_e32 v7, v16, v7, vcc
	v_and_b32_e32 v16, 7, v7
	v_cmp_lt_i32_e32 vcc, 5, v16
	v_cmp_eq_u32_e64 s[0:1], 3, v16
	v_lshrrev_b32_e32 v7, 2, v7
	s_or_b64 vcc, s[0:1], vcc
	v_addc_co_u32_e32 v7, vcc, 0, v7, vcc
	v_cmp_gt_i32_e32 vcc, 31, v15
	v_cvt_f32_f16_e32 v8, v8
	v_and_b32_sdwa v10, v3, s16 dst_sel:DWORD dst_unused:UNUSED_PAD src0_sel:WORD_1 src1_sel:DWORD
	v_cndmask_b32_e32 v7, v4, v7, vcc
	v_cmp_ne_u32_e32 vcc, 0, v2
	s_nop 1
	v_cndmask_b32_e64 v2, 0, 1, vcc
	v_lshl_or_b32 v2, v2, 9, v4
	v_cmp_eq_u32_e32 vcc, s15, v15
	s_nop 1
	v_cndmask_b32_e32 v7, v7, v2, vcc
	v_cvt_f64_f32_e32 v[2:3], v8
	v_mul_f64 v[2:3], v[2:3], s[6:7]
	v_and_or_b32 v2, v3, s10, v2
	v_cmp_ne_u32_e32 vcc, 0, v2
	v_lshrrev_b32_e32 v8, 8, v3
	v_bfe_u32 v12, v3, 20, 11
	v_cndmask_b32_e64 v2, 0, 1, vcc
	v_and_or_b32 v2, v8, s14, v2
	v_sub_u32_e32 v15, 0x3f1, v12
	v_or_b32_e32 v8, 0x1000, v2
	v_med3_i32 v15, v15, 0, 13
	v_lshrrev_b32_e32 v16, v15, v8
	v_lshlrev_b32_e32 v15, v15, v16
	v_cmp_ne_u32_e32 vcc, v15, v8
	v_add_u32_e32 v12, 0xfffffc10, v12
	v_lshl_or_b32 v15, v12, 12, v2
	v_cndmask_b32_e64 v8, 0, 1, vcc
	v_or_b32_e32 v8, v16, v8
	v_cmp_gt_i32_e32 vcc, 1, v12
	v_lshrrev_b32_e32 v3, 16, v3
	s_nop 0
	v_cndmask_b32_e32 v8, v15, v8, vcc
	v_and_b32_e32 v15, 7, v8
	v_cmp_lt_i32_e32 vcc, 5, v15
	v_cmp_eq_u32_e64 s[0:1], 3, v15
	v_lshrrev_b32_e32 v8, 2, v8
	s_or_b64 vcc, s[0:1], vcc
	v_addc_co_u32_e32 v8, vcc, 0, v8, vcc
	v_cmp_gt_i32_e32 vcc, 31, v12
	v_mad_u64_u32 v[0:1], s[0:1], s8, v5, v[0:1]
	s_nop 0
	v_cndmask_b32_e32 v8, v4, v8, vcc
	v_cmp_ne_u32_e32 vcc, 0, v2
	v_add_u32_e32 v1, s3, v1
	s_nop 0
	v_cndmask_b32_e64 v2, 0, 1, vcc
	v_lshl_or_b32 v2, v2, 9, v4
	v_cmp_eq_u32_e32 vcc, s15, v12
	s_nop 1
	v_cndmask_b32_e32 v2, v8, v2, vcc
	v_and_or_b32 v2, v3, s16, v2
	v_bitop3_b32 v3, v10, s2, v7 bitop3:0xc8
	v_lshrrev_b32_e32 v7, 16, v9
	v_lshl_or_b32 v2, v2, 16, v3
	s_waitcnt vmcnt(3)
	v_mul_f16_sdwa v3, v7, v13 dst_sel:DWORD dst_unused:UNUSED_PAD src0_sel:DWORD src1_sel:WORD_1
	v_fma_f16 v3, v9, v13, v3
	v_cvt_f32_f16_e32 v3, v3
	global_store_dword v[0:1], v2, off
	v_mul_f16_sdwa v9, v9, v13 dst_sel:DWORD dst_unused:UNUSED_PAD src0_sel:DWORD src1_sel:WORD_1
	v_fma_f16 v7, v13, v7, -v9
	v_cvt_f64_f32_e32 v[2:3], v3
	v_mul_f64 v[2:3], v[2:3], s[6:7]
	v_and_or_b32 v2, v3, s10, v2
	v_cmp_ne_u32_e32 vcc, 0, v2
	v_lshrrev_b32_e32 v8, 8, v3
	v_bfe_u32 v10, v3, 20, 11
	v_cndmask_b32_e64 v2, 0, 1, vcc
	v_and_or_b32 v2, v8, s14, v2
	v_sub_u32_e32 v12, 0x3f1, v10
	v_or_b32_e32 v8, 0x1000, v2
	v_med3_i32 v12, v12, 0, 13
	v_lshrrev_b32_e32 v15, v12, v8
	v_lshlrev_b32_e32 v12, v12, v15
	v_cmp_ne_u32_e32 vcc, v12, v8
	v_add_u32_e32 v10, 0xfffffc10, v10
	v_lshl_or_b32 v12, v10, 12, v2
	v_cndmask_b32_e64 v8, 0, 1, vcc
	v_or_b32_e32 v8, v15, v8
	v_cmp_gt_i32_e32 vcc, 1, v10
	v_cvt_f32_f16_e32 v7, v7
	v_and_b32_sdwa v9, v3, s16 dst_sel:DWORD dst_unused:UNUSED_PAD src0_sel:WORD_1 src1_sel:DWORD
	v_cndmask_b32_e32 v8, v12, v8, vcc
	v_and_b32_e32 v12, 7, v8
	v_cmp_lt_i32_e32 vcc, 5, v12
	v_cmp_eq_u32_e64 s[0:1], 3, v12
	v_lshrrev_b32_e32 v8, 2, v8
	s_or_b64 vcc, s[0:1], vcc
	v_addc_co_u32_e32 v8, vcc, 0, v8, vcc
	v_cmp_gt_i32_e32 vcc, 31, v10
	s_nop 1
	v_cndmask_b32_e32 v8, v4, v8, vcc
	v_cmp_ne_u32_e32 vcc, 0, v2
	s_nop 1
	v_cndmask_b32_e64 v2, 0, 1, vcc
	v_lshl_or_b32 v2, v2, 9, v4
	v_cmp_eq_u32_e32 vcc, s15, v10
	s_nop 1
	v_cndmask_b32_e32 v8, v8, v2, vcc
	v_cvt_f64_f32_e32 v[2:3], v7
	v_mul_f64 v[2:3], v[2:3], s[6:7]
	v_and_or_b32 v2, v3, s10, v2
	v_cmp_ne_u32_e32 vcc, 0, v2
	v_lshrrev_b32_e32 v7, 8, v3
	v_bfe_u32 v10, v3, 20, 11
	v_cndmask_b32_e64 v2, 0, 1, vcc
	v_and_or_b32 v2, v7, s14, v2
	v_sub_u32_e32 v12, 0x3f1, v10
	v_or_b32_e32 v7, 0x1000, v2
	v_med3_i32 v12, v12, 0, 13
	v_lshrrev_b32_e32 v13, v12, v7
	v_lshlrev_b32_e32 v12, v12, v13
	v_cmp_ne_u32_e32 vcc, v12, v7
	v_add_u32_e32 v10, 0xfffffc10, v10
	v_lshl_or_b32 v12, v10, 12, v2
	v_cndmask_b32_e64 v7, 0, 1, vcc
	v_or_b32_e32 v7, v13, v7
	v_cmp_gt_i32_e32 vcc, 1, v10
	v_lshrrev_b32_e32 v3, 16, v3
	s_nop 0
	v_cndmask_b32_e32 v7, v12, v7, vcc
	v_and_b32_e32 v12, 7, v7
	v_cmp_lt_i32_e32 vcc, 5, v12
	v_cmp_eq_u32_e64 s[0:1], 3, v12
	v_lshrrev_b32_e32 v7, 2, v7
	s_or_b64 vcc, s[0:1], vcc
	v_addc_co_u32_e32 v7, vcc, 0, v7, vcc
	v_cmp_gt_i32_e32 vcc, 31, v10
	v_mad_u64_u32 v[0:1], s[0:1], s8, v5, v[0:1]
	s_nop 0
	v_cndmask_b32_e32 v7, v4, v7, vcc
	v_cmp_ne_u32_e32 vcc, 0, v2
	v_add_u32_e32 v1, s3, v1
	s_nop 0
	v_cndmask_b32_e64 v2, 0, 1, vcc
	v_lshl_or_b32 v2, v2, 9, v4
	v_cmp_eq_u32_e32 vcc, s15, v10
	s_nop 1
	v_cndmask_b32_e32 v2, v7, v2, vcc
	ds_read2_b32 v[6:7], v6 offset0:114 offset1:136
	v_and_or_b32 v2, v3, s16, v2
	v_bitop3_b32 v3, v9, s2, v8 bitop3:0xc8
	v_lshl_or_b32 v2, v2, 16, v3
	global_store_dword v[0:1], v2, off
	s_waitcnt lgkmcnt(0)
	v_lshrrev_b32_e32 v8, 16, v6
	s_waitcnt vmcnt(4)
	v_mul_f16_sdwa v3, v8, v14 dst_sel:DWORD dst_unused:UNUSED_PAD src0_sel:DWORD src1_sel:WORD_1
	v_fma_f16 v3, v6, v14, v3
	v_cvt_f32_f16_e32 v3, v3
	v_mul_f16_sdwa v6, v6, v14 dst_sel:DWORD dst_unused:UNUSED_PAD src0_sel:DWORD src1_sel:WORD_1
	v_fma_f16 v6, v14, v8, -v6
	v_cvt_f32_f16_e32 v6, v6
	v_cvt_f64_f32_e32 v[2:3], v3
	v_mul_f64 v[2:3], v[2:3], s[6:7]
	v_and_or_b32 v2, v3, s10, v2
	v_cmp_ne_u32_e32 vcc, 0, v2
	v_lshrrev_b32_e32 v9, 8, v3
	v_bfe_u32 v10, v3, 20, 11
	v_cndmask_b32_e64 v2, 0, 1, vcc
	v_and_or_b32 v2, v9, s14, v2
	v_sub_u32_e32 v12, 0x3f1, v10
	v_or_b32_e32 v9, 0x1000, v2
	v_med3_i32 v12, v12, 0, 13
	v_lshrrev_b32_e32 v13, v12, v9
	v_lshlrev_b32_e32 v12, v12, v13
	v_cmp_ne_u32_e32 vcc, v12, v9
	v_add_u32_e32 v10, 0xfffffc10, v10
	v_lshl_or_b32 v12, v10, 12, v2
	v_cndmask_b32_e64 v9, 0, 1, vcc
	v_or_b32_e32 v9, v13, v9
	v_cmp_gt_i32_e32 vcc, 1, v10
	s_nop 1
	v_cndmask_b32_e32 v9, v12, v9, vcc
	v_and_b32_e32 v12, 7, v9
	v_cmp_lt_i32_e32 vcc, 5, v12
	v_cmp_eq_u32_e64 s[0:1], 3, v12
	v_lshrrev_b32_e32 v9, 2, v9
	s_or_b64 vcc, s[0:1], vcc
	v_addc_co_u32_e32 v9, vcc, 0, v9, vcc
	v_cmp_gt_i32_e32 vcc, 31, v10
	s_nop 1
	v_cndmask_b32_e32 v9, v4, v9, vcc
	v_cmp_ne_u32_e32 vcc, 0, v2
	s_nop 1
	v_cndmask_b32_e64 v2, 0, 1, vcc
	v_lshl_or_b32 v2, v2, 9, v4
	v_cmp_eq_u32_e32 vcc, s15, v10
	s_nop 1
	v_cndmask_b32_e32 v8, v9, v2, vcc
	v_and_b32_sdwa v9, v3, s16 dst_sel:DWORD dst_unused:UNUSED_PAD src0_sel:WORD_1 src1_sel:DWORD
	v_cvt_f64_f32_e32 v[2:3], v6
	v_mul_f64 v[2:3], v[2:3], s[6:7]
	v_and_or_b32 v2, v3, s10, v2
	v_cmp_ne_u32_e32 vcc, 0, v2
	v_lshrrev_b32_e32 v6, 8, v3
	v_bfe_u32 v10, v3, 20, 11
	v_cndmask_b32_e64 v2, 0, 1, vcc
	v_and_or_b32 v2, v6, s14, v2
	v_sub_u32_e32 v12, 0x3f1, v10
	v_or_b32_e32 v6, 0x1000, v2
	v_med3_i32 v12, v12, 0, 13
	v_lshrrev_b32_e32 v13, v12, v6
	v_lshlrev_b32_e32 v12, v12, v13
	v_cmp_ne_u32_e32 vcc, v12, v6
	v_add_u32_e32 v10, 0xfffffc10, v10
	v_lshl_or_b32 v12, v10, 12, v2
	v_cndmask_b32_e64 v6, 0, 1, vcc
	v_or_b32_e32 v6, v13, v6
	v_cmp_gt_i32_e32 vcc, 1, v10
	v_lshrrev_b32_e32 v3, 16, v3
	s_nop 0
	v_cndmask_b32_e32 v6, v12, v6, vcc
	v_and_b32_e32 v12, 7, v6
	v_cmp_lt_i32_e32 vcc, 5, v12
	v_cmp_eq_u32_e64 s[0:1], 3, v12
	v_lshrrev_b32_e32 v6, 2, v6
	s_or_b64 vcc, s[0:1], vcc
	v_addc_co_u32_e32 v6, vcc, 0, v6, vcc
	v_cmp_gt_i32_e32 vcc, 31, v10
	v_mad_u64_u32 v[0:1], s[0:1], s8, v5, v[0:1]
	s_nop 0
	v_cndmask_b32_e32 v6, v4, v6, vcc
	v_cmp_ne_u32_e32 vcc, 0, v2
	v_add_u32_e32 v1, s3, v1
	s_nop 0
	v_cndmask_b32_e64 v2, 0, 1, vcc
	v_lshl_or_b32 v2, v2, 9, v4
	v_cmp_eq_u32_e32 vcc, s15, v10
	s_nop 1
	v_cndmask_b32_e32 v2, v6, v2, vcc
	v_and_or_b32 v2, v3, s16, v2
	v_bitop3_b32 v3, v9, s2, v8 bitop3:0xc8
	v_lshl_or_b32 v2, v2, 16, v3
	global_store_dword v[0:1], v2, off
	global_load_dword v6, v11, s[12:13] offset:1056
	v_lshrrev_b32_e32 v8, 16, v7
	s_waitcnt vmcnt(0)
	v_mul_f16_sdwa v2, v8, v6 dst_sel:DWORD dst_unused:UNUSED_PAD src0_sel:DWORD src1_sel:WORD_1
	v_fma_f16 v2, v7, v6, v2
	v_cvt_f32_f16_e32 v2, v2
	v_mul_f16_sdwa v7, v7, v6 dst_sel:DWORD dst_unused:UNUSED_PAD src0_sel:DWORD src1_sel:WORD_1
	v_fma_f16 v6, v6, v8, -v7
	v_cvt_f32_f16_e32 v6, v6
	v_cvt_f64_f32_e32 v[2:3], v2
	v_mul_f64 v[2:3], v[2:3], s[6:7]
	v_and_or_b32 v2, v3, s10, v2
	v_cmp_ne_u32_e32 vcc, 0, v2
	v_lshrrev_b32_e32 v9, 8, v3
	v_bfe_u32 v10, v3, 20, 11
	v_cndmask_b32_e64 v2, 0, 1, vcc
	v_and_or_b32 v2, v9, s14, v2
	v_sub_u32_e32 v11, 0x3f1, v10
	v_or_b32_e32 v9, 0x1000, v2
	v_med3_i32 v11, v11, 0, 13
	v_lshrrev_b32_e32 v12, v11, v9
	v_lshlrev_b32_e32 v11, v11, v12
	v_cmp_ne_u32_e32 vcc, v11, v9
	v_add_u32_e32 v10, 0xfffffc10, v10
	v_lshl_or_b32 v11, v10, 12, v2
	v_cndmask_b32_e64 v9, 0, 1, vcc
	v_or_b32_e32 v9, v12, v9
	v_cmp_gt_i32_e32 vcc, 1, v10
	v_and_b32_sdwa v8, v3, s16 dst_sel:DWORD dst_unused:UNUSED_PAD src0_sel:WORD_1 src1_sel:DWORD
	s_nop 0
	v_cndmask_b32_e32 v9, v11, v9, vcc
	v_and_b32_e32 v11, 7, v9
	v_cmp_lt_i32_e32 vcc, 5, v11
	v_cmp_eq_u32_e64 s[0:1], 3, v11
	v_lshrrev_b32_e32 v9, 2, v9
	s_or_b64 vcc, s[0:1], vcc
	v_addc_co_u32_e32 v9, vcc, 0, v9, vcc
	v_cmp_gt_i32_e32 vcc, 31, v10
	s_nop 1
	v_cndmask_b32_e32 v9, v4, v9, vcc
	v_cmp_ne_u32_e32 vcc, 0, v2
	s_nop 1
	v_cndmask_b32_e64 v2, 0, 1, vcc
	v_lshl_or_b32 v2, v2, 9, v4
	v_cmp_eq_u32_e32 vcc, s15, v10
	s_nop 1
	v_cndmask_b32_e32 v7, v9, v2, vcc
	v_cvt_f64_f32_e32 v[2:3], v6
	v_mul_f64 v[2:3], v[2:3], s[6:7]
	v_and_or_b32 v2, v3, s10, v2
	v_cmp_ne_u32_e32 vcc, 0, v2
	v_lshrrev_b32_e32 v6, 8, v3
	v_bfe_u32 v9, v3, 20, 11
	v_cndmask_b32_e64 v2, 0, 1, vcc
	v_and_or_b32 v2, v6, s14, v2
	v_sub_u32_e32 v10, 0x3f1, v9
	v_or_b32_e32 v6, 0x1000, v2
	v_med3_i32 v10, v10, 0, 13
	v_lshrrev_b32_e32 v11, v10, v6
	v_lshlrev_b32_e32 v10, v10, v11
	v_cmp_ne_u32_e32 vcc, v10, v6
	v_add_u32_e32 v9, 0xfffffc10, v9
	v_lshl_or_b32 v10, v9, 12, v2
	v_cndmask_b32_e64 v6, 0, 1, vcc
	v_or_b32_e32 v6, v11, v6
	v_cmp_gt_i32_e32 vcc, 1, v9
	v_lshrrev_b32_e32 v3, 16, v3
	s_nop 0
	v_cndmask_b32_e32 v6, v10, v6, vcc
	v_and_b32_e32 v10, 7, v6
	v_cmp_lt_i32_e32 vcc, 5, v10
	v_cmp_eq_u32_e64 s[0:1], 3, v10
	v_lshrrev_b32_e32 v6, 2, v6
	s_or_b64 vcc, s[0:1], vcc
	v_addc_co_u32_e32 v6, vcc, 0, v6, vcc
	v_cmp_gt_i32_e32 vcc, 31, v9
	v_mad_u64_u32 v[0:1], s[0:1], s8, v5, v[0:1]
	s_nop 0
	v_cndmask_b32_e32 v6, v4, v6, vcc
	v_cmp_ne_u32_e32 vcc, 0, v2
	v_add_u32_e32 v1, s3, v1
	s_nop 0
	v_cndmask_b32_e64 v2, 0, 1, vcc
	v_lshl_or_b32 v2, v2, 9, v4
	v_cmp_eq_u32_e32 vcc, s15, v9
	s_nop 1
	v_cndmask_b32_e32 v2, v6, v2, vcc
	v_and_or_b32 v2, v3, s16, v2
	v_bitop3_b32 v3, v8, s2, v7 bitop3:0xc8
	v_lshl_or_b32 v2, v2, 16, v3
	global_store_dword v[0:1], v2, off
.LBB0_23:
	s_endpgm
	.section	.rodata,"a",@progbits
	.p2align	6, 0x0
	.amdhsa_kernel bluestein_single_back_len286_dim1_half_op_CI_CI
		.amdhsa_group_segment_fixed_size 2288
		.amdhsa_private_segment_fixed_size 0
		.amdhsa_kernarg_size 104
		.amdhsa_user_sgpr_count 2
		.amdhsa_user_sgpr_dispatch_ptr 0
		.amdhsa_user_sgpr_queue_ptr 0
		.amdhsa_user_sgpr_kernarg_segment_ptr 1
		.amdhsa_user_sgpr_dispatch_id 0
		.amdhsa_user_sgpr_kernarg_preload_length 0
		.amdhsa_user_sgpr_kernarg_preload_offset 0
		.amdhsa_user_sgpr_private_segment_size 0
		.amdhsa_uses_dynamic_stack 0
		.amdhsa_enable_private_segment 0
		.amdhsa_system_sgpr_workgroup_id_x 1
		.amdhsa_system_sgpr_workgroup_id_y 0
		.amdhsa_system_sgpr_workgroup_id_z 0
		.amdhsa_system_sgpr_workgroup_info 0
		.amdhsa_system_vgpr_workitem_id 0
		.amdhsa_next_free_vgpr 158
		.amdhsa_next_free_sgpr 29
		.amdhsa_accum_offset 160
		.amdhsa_reserve_vcc 1
		.amdhsa_float_round_mode_32 0
		.amdhsa_float_round_mode_16_64 0
		.amdhsa_float_denorm_mode_32 3
		.amdhsa_float_denorm_mode_16_64 3
		.amdhsa_dx10_clamp 1
		.amdhsa_ieee_mode 1
		.amdhsa_fp16_overflow 0
		.amdhsa_tg_split 0
		.amdhsa_exception_fp_ieee_invalid_op 0
		.amdhsa_exception_fp_denorm_src 0
		.amdhsa_exception_fp_ieee_div_zero 0
		.amdhsa_exception_fp_ieee_overflow 0
		.amdhsa_exception_fp_ieee_underflow 0
		.amdhsa_exception_fp_ieee_inexact 0
		.amdhsa_exception_int_div_zero 0
	.end_amdhsa_kernel
	.text
.Lfunc_end0:
	.size	bluestein_single_back_len286_dim1_half_op_CI_CI, .Lfunc_end0-bluestein_single_back_len286_dim1_half_op_CI_CI
                                        ; -- End function
	.section	.AMDGPU.csdata,"",@progbits
; Kernel info:
; codeLenInByte = 21720
; NumSgprs: 35
; NumVgprs: 158
; NumAgprs: 0
; TotalNumVgprs: 158
; ScratchSize: 0
; MemoryBound: 0
; FloatMode: 240
; IeeeMode: 1
; LDSByteSize: 2288 bytes/workgroup (compile time only)
; SGPRBlocks: 4
; VGPRBlocks: 19
; NumSGPRsForWavesPerEU: 35
; NumVGPRsForWavesPerEU: 158
; AccumOffset: 160
; Occupancy: 3
; WaveLimiterHint : 1
; COMPUTE_PGM_RSRC2:SCRATCH_EN: 0
; COMPUTE_PGM_RSRC2:USER_SGPR: 2
; COMPUTE_PGM_RSRC2:TRAP_HANDLER: 0
; COMPUTE_PGM_RSRC2:TGID_X_EN: 1
; COMPUTE_PGM_RSRC2:TGID_Y_EN: 0
; COMPUTE_PGM_RSRC2:TGID_Z_EN: 0
; COMPUTE_PGM_RSRC2:TIDIG_COMP_CNT: 0
; COMPUTE_PGM_RSRC3_GFX90A:ACCUM_OFFSET: 39
; COMPUTE_PGM_RSRC3_GFX90A:TG_SPLIT: 0
	.text
	.p2alignl 6, 3212836864
	.fill 256, 4, 3212836864
	.type	__hip_cuid_be505d40c6020dfd,@object ; @__hip_cuid_be505d40c6020dfd
	.section	.bss,"aw",@nobits
	.globl	__hip_cuid_be505d40c6020dfd
__hip_cuid_be505d40c6020dfd:
	.byte	0                               ; 0x0
	.size	__hip_cuid_be505d40c6020dfd, 1

	.ident	"AMD clang version 19.0.0git (https://github.com/RadeonOpenCompute/llvm-project roc-6.4.0 25133 c7fe45cf4b819c5991fe208aaa96edf142730f1d)"
	.section	".note.GNU-stack","",@progbits
	.addrsig
	.addrsig_sym __hip_cuid_be505d40c6020dfd
	.amdgpu_metadata
---
amdhsa.kernels:
  - .agpr_count:     0
    .args:
      - .actual_access:  read_only
        .address_space:  global
        .offset:         0
        .size:           8
        .value_kind:     global_buffer
      - .actual_access:  read_only
        .address_space:  global
        .offset:         8
        .size:           8
        .value_kind:     global_buffer
      - .actual_access:  read_only
        .address_space:  global
        .offset:         16
        .size:           8
        .value_kind:     global_buffer
      - .actual_access:  read_only
        .address_space:  global
        .offset:         24
        .size:           8
        .value_kind:     global_buffer
      - .actual_access:  read_only
        .address_space:  global
        .offset:         32
        .size:           8
        .value_kind:     global_buffer
      - .offset:         40
        .size:           8
        .value_kind:     by_value
      - .address_space:  global
        .offset:         48
        .size:           8
        .value_kind:     global_buffer
      - .address_space:  global
        .offset:         56
        .size:           8
        .value_kind:     global_buffer
      - .address_space:  global
        .offset:         64
        .size:           8
        .value_kind:     global_buffer
      - .address_space:  global
        .offset:         72
        .size:           8
        .value_kind:     global_buffer
      - .offset:         80
        .size:           4
        .value_kind:     by_value
      - .address_space:  global
        .offset:         88
        .size:           8
        .value_kind:     global_buffer
      - .address_space:  global
        .offset:         96
        .size:           8
        .value_kind:     global_buffer
    .group_segment_fixed_size: 2288
    .kernarg_segment_align: 8
    .kernarg_segment_size: 104
    .language:       OpenCL C
    .language_version:
      - 2
      - 0
    .max_flat_workgroup_size: 52
    .name:           bluestein_single_back_len286_dim1_half_op_CI_CI
    .private_segment_fixed_size: 0
    .sgpr_count:     35
    .sgpr_spill_count: 0
    .symbol:         bluestein_single_back_len286_dim1_half_op_CI_CI.kd
    .uniform_work_group_size: 1
    .uses_dynamic_stack: false
    .vgpr_count:     158
    .vgpr_spill_count: 0
    .wavefront_size: 64
amdhsa.target:   amdgcn-amd-amdhsa--gfx950
amdhsa.version:
  - 1
  - 2
...

	.end_amdgpu_metadata
